;; amdgpu-corpus repo=ROCm/rocSPARSE kind=compiled arch=gfx1250 opt=O3
	.amdgcn_target "amdgcn-amd-amdhsa--gfx1250"
	.amdhsa_code_object_version 6
	.section	.text._ZN9rocsparseL23check_matrix_ell_deviceILj256EfiEEvT1_S1_S1_PKT0_PKS1_21rocsparse_index_base_22rocsparse_matrix_type_20rocsparse_fill_mode_23rocsparse_storage_mode_P22rocsparse_data_status_,"axG",@progbits,_ZN9rocsparseL23check_matrix_ell_deviceILj256EfiEEvT1_S1_S1_PKT0_PKS1_21rocsparse_index_base_22rocsparse_matrix_type_20rocsparse_fill_mode_23rocsparse_storage_mode_P22rocsparse_data_status_,comdat
	.globl	_ZN9rocsparseL23check_matrix_ell_deviceILj256EfiEEvT1_S1_S1_PKT0_PKS1_21rocsparse_index_base_22rocsparse_matrix_type_20rocsparse_fill_mode_23rocsparse_storage_mode_P22rocsparse_data_status_ ; -- Begin function _ZN9rocsparseL23check_matrix_ell_deviceILj256EfiEEvT1_S1_S1_PKT0_PKS1_21rocsparse_index_base_22rocsparse_matrix_type_20rocsparse_fill_mode_23rocsparse_storage_mode_P22rocsparse_data_status_
	.p2align	8
	.type	_ZN9rocsparseL23check_matrix_ell_deviceILj256EfiEEvT1_S1_S1_PKT0_PKS1_21rocsparse_index_base_22rocsparse_matrix_type_20rocsparse_fill_mode_23rocsparse_storage_mode_P22rocsparse_data_status_,@function
_ZN9rocsparseL23check_matrix_ell_deviceILj256EfiEEvT1_S1_S1_PKT0_PKS1_21rocsparse_index_base_22rocsparse_matrix_type_20rocsparse_fill_mode_23rocsparse_storage_mode_P22rocsparse_data_status_: ; @_ZN9rocsparseL23check_matrix_ell_deviceILj256EfiEEvT1_S1_S1_PKT0_PKS1_21rocsparse_index_base_22rocsparse_matrix_type_20rocsparse_fill_mode_23rocsparse_storage_mode_P22rocsparse_data_status_
; %bb.0:
	s_load_b96 s[4:6], s[0:1], 0x0
	s_bfe_u32 s2, ttmp6, 0x4000c
	s_and_b32 s3, ttmp6, 15
	s_add_co_i32 s2, s2, 1
	s_getreg_b32 s7, hwreg(HW_REG_IB_STS2, 6, 4)
	s_mul_i32 s2, ttmp9, s2
	s_delay_alu instid0(SALU_CYCLE_1) | instskip(SKIP_2) | instid1(SALU_CYCLE_1)
	s_add_co_i32 s3, s3, s2
	s_cmp_eq_u32 s7, 0
	s_cselect_b32 s2, ttmp9, s3
	v_lshl_or_b32 v2, s2, 8, v0
	s_wait_kmcnt 0x0
	s_delay_alu instid0(VALU_DEP_1) | instskip(SKIP_2) | instid1(SALU_CYCLE_1)
	v_cmp_gt_i32_e32 vcc_lo, s4, v2
	s_cmp_gt_i32 s6, 0
	s_cselect_b32 s2, -1, 0
	s_and_b32 s2, vcc_lo, s2
	s_delay_alu instid0(SALU_CYCLE_1)
	s_and_saveexec_b32 s3, s2
	s_cbranch_execz .LBB0_27
; %bb.1:
	s_load_b64 s[8:9], s[0:1], 0x18
	s_wait_kmcnt 0x0
	global_load_b32 v0, v2, s[8:9] scale_offset
	s_wait_loadcnt 0x0
	v_cmp_ne_u32_e32 vcc_lo, -1, v0
	s_and_b32 exec_lo, exec_lo, vcc_lo
	s_cbranch_execz .LBB0_27
; %bb.2:
	s_load_b32 s17, s[0:1], 0x20
	v_mov_b32_e32 v4, 4
	s_wait_kmcnt 0x0
	v_subrev_nc_u32_e32 v0, s17, v0
	s_delay_alu instid0(VALU_DEP_1) | instskip(SKIP_2) | instid1(SALU_CYCLE_1)
	v_cmp_lt_i32_e32 vcc_lo, -1, v0
	v_cmp_gt_i32_e64 s2, s5, v0
	s_and_b32 s2, vcc_lo, s2
	s_xor_b32 s14, s2, -1
	s_and_saveexec_b32 s15, s2
	s_cbranch_execz .LBB0_25
; %bb.3:
	s_load_b64 s[10:11], s[0:1], 0x10
	v_dual_mov_b32 v4, 1 :: v_dual_ashrrev_i32 v3, 31, v2
	s_mov_b32 s16, exec_lo
	s_wait_kmcnt 0x0
	s_delay_alu instid0(VALU_DEP_1)
	v_lshl_add_u64 v[0:1], v[2:3], 2, s[10:11]
	global_load_b32 v0, v[0:1], off
	s_wait_loadcnt 0x0
	v_cmp_eq_f32_e64 s2, 0x7f800000, v0
	v_cmpx_neq_f32_e32 0x7f800000, v0
	s_cbranch_execz .LBB0_24
; %bb.4:
	v_mov_b32_e32 v4, 2
	s_mov_b32 s3, -1
	s_mov_b32 s18, exec_lo
	v_cmpx_o_f32_e32 v0, v0
	s_cbranch_execz .LBB0_23
; %bb.5:
	s_cmp_lg_u32 s6, 1
	s_cbranch_scc0 .LBB0_20
; %bb.6:
	s_load_b32 s3, s[0:1], 0x2c
	s_mov_b32 s12, s4
	v_lshl_add_u64 v[0:1], v[2:3], 2, s[8:9]
	s_mov_b32 s22, 0
                                        ; implicit-def: $sgpr21
                                        ; implicit-def: $sgpr24
                                        ; implicit-def: $sgpr25
	s_wait_kmcnt 0x0
	s_cmp_eq_u32 s3, 0
	s_cselect_b32 s19, -1, 0
	s_cmp_lg_u32 s3, 0
	s_cselect_b32 s20, -1, 0
	s_ashr_i32 s13, s4, 31
	s_add_co_i32 s23, s6, -1
	s_lshl_b64 s[12:13], s[12:13], 2
	s_mov_b32 s6, 0
	v_lshl_add_u64 v[2:3], v[2:3], 2, s[12:13]
	s_branch .LBB0_12
.LBB0_7:                                ;   in Loop: Header=BB0_12 Depth=1
	s_or_b32 exec_lo, exec_lo, s31
	v_mov_b32_e32 v4, s7
	s_and_b32 s29, s29, exec_lo
	s_or_not1_b32 s7, s30, exec_lo
.LBB0_8:                                ;   in Loop: Header=BB0_12 Depth=1
	s_or_b32 exec_lo, exec_lo, s28
	s_delay_alu instid0(SALU_CYCLE_1)
	s_and_b32 s28, s29, exec_lo
	s_or_not1_b32 s7, s7, exec_lo
.LBB0_9:                                ;   in Loop: Header=BB0_12 Depth=1
	s_or_b32 exec_lo, exec_lo, s27
	s_delay_alu instid0(SALU_CYCLE_1)
	s_and_b32 s27, s28, exec_lo
	s_or_not1_b32 s7, s7, exec_lo
.LBB0_10:                               ;   in Loop: Header=BB0_12 Depth=1
	s_or_b32 exec_lo, exec_lo, s3
	s_delay_alu instid0(SALU_CYCLE_1)
	s_and_not1_b32 s3, s25, exec_lo
	s_and_b32 s25, s27, exec_lo
	s_and_not1_b32 s24, s24, exec_lo
	s_and_b32 s7, s7, exec_lo
	s_or_b32 s25, s3, s25
	s_or_b32 s24, s24, s7
.LBB0_11:                               ;   in Loop: Header=BB0_12 Depth=1
	s_or_b32 exec_lo, exec_lo, s26
	s_xor_b32 s3, s25, -1
	s_and_b32 s7, exec_lo, s24
	s_delay_alu instid0(SALU_CYCLE_1) | instskip(SKIP_2) | instid1(SALU_CYCLE_1)
	s_or_b32 s22, s7, s22
	s_and_not1_b32 s7, s21, exec_lo
	s_and_b32 s3, s3, exec_lo
	s_or_b32 s21, s7, s3
	s_and_not1_b32 exec_lo, exec_lo, s22
	s_cbranch_execz .LBB0_21
.LBB0_12:                               ; =>This Inner Loop Header: Depth=1
	s_delay_alu instid0(VALU_DEP_1)
	v_add_nc_u64_e32 v[4:5], s[8:9], v[2:3]
	s_or_b32 s25, s25, exec_lo
	s_or_b32 s24, s24, exec_lo
	s_mov_b32 s26, exec_lo
	global_load_b32 v5, v[4:5], off
                                        ; implicit-def: $vgpr4
	s_wait_loadcnt 0x0
	v_cmpx_ne_u32_e32 -1, v5
	s_cbranch_execz .LBB0_11
; %bb.13:                               ;   in Loop: Header=BB0_12 Depth=1
	v_subrev_nc_u32_e32 v4, s17, v5
	s_mov_b32 s7, -1
	s_mov_b32 s27, 0
	s_delay_alu instid0(VALU_DEP_1) | instskip(SKIP_3) | instid1(SALU_CYCLE_1)
	v_cmp_lt_i32_e32 vcc_lo, -1, v4
	v_cmp_gt_i32_e64 s3, s5, v4
	v_mov_b32_e32 v4, 4
	s_and_b32 s28, vcc_lo, s3
	s_and_saveexec_b32 s3, s28
	s_cbranch_execz .LBB0_10
; %bb.14:                               ;   in Loop: Header=BB0_12 Depth=1
	v_add_nc_u64_e32 v[6:7], s[10:11], v[2:3]
	v_mov_b32_e32 v4, 1
	s_mov_b32 s28, 0
	s_mov_b32 s27, exec_lo
	global_load_b32 v6, v[6:7], off
	s_wait_loadcnt 0x0
	v_cmpx_neq_f32_e32 0x7f800000, v6
	s_cbranch_execz .LBB0_9
; %bb.15:                               ;   in Loop: Header=BB0_12 Depth=1
	v_mov_b32_e32 v4, 2
	s_mov_b32 s29, 0
	s_mov_b32 s28, exec_lo
	v_cmpx_o_f32_e32 v6, v6
	s_cbranch_execz .LBB0_8
; %bb.16:                               ;   in Loop: Header=BB0_12 Depth=1
	s_mov_b32 s7, 2
	s_and_b32 vcc_lo, exec_lo, s19
	s_mov_b32 s33, s20
	s_cbranch_vccz .LBB0_18
; %bb.17:                               ;   in Loop: Header=BB0_12 Depth=1
	s_ashr_i32 s7, s6, 31
	s_and_not1_b32 s29, s20, exec_lo
	v_lshl_add_u64 v[6:7], s[6:7], 2, v[0:1]
	s_mov_b32 s7, 6
	global_load_b32 v4, v[6:7], off
	s_wait_loadcnt 0x0
	v_cmp_lt_i32_e32 vcc_lo, v4, v5
	s_and_b32 s30, vcc_lo, exec_lo
	s_delay_alu instid0(SALU_CYCLE_1)
	s_or_b32 s33, s29, s30
.LBB0_18:                               ;   in Loop: Header=BB0_12 Depth=1
	s_mov_b32 s30, -1
	s_mov_b32 s29, 0
	s_and_saveexec_b32 s31, s33
	s_cbranch_execz .LBB0_7
; %bb.19:                               ;   in Loop: Header=BB0_12 Depth=1
	s_add_co_i32 s23, s23, -1
	v_add_nc_u64_e32 v[2:3], s[12:13], v[2:3]
	s_add_co_i32 s6, s6, s4
	s_cmp_eq_u32 s23, 0
	s_mov_b32 s29, exec_lo
	s_cselect_b32 s30, -1, 0
	s_delay_alu instid0(SALU_CYCLE_1)
	s_or_not1_b32 s30, s30, exec_lo
	s_branch .LBB0_7
.LBB0_20:
	v_mov_b32_e32 v4, 2
	s_mov_b32 s21, 0
	s_branch .LBB0_22
.LBB0_21:
	s_or_b32 exec_lo, exec_lo, s22
.LBB0_22:
	s_delay_alu instid0(SALU_CYCLE_1)
	s_or_not1_b32 s3, s21, exec_lo
.LBB0_23:
	s_or_b32 exec_lo, exec_lo, s18
	s_delay_alu instid0(SALU_CYCLE_1) | instskip(SKIP_1) | instid1(SALU_CYCLE_1)
	s_and_not1_b32 s2, s2, exec_lo
	s_and_b32 s3, s3, exec_lo
	s_or_b32 s2, s2, s3
.LBB0_24:
	s_or_b32 exec_lo, exec_lo, s16
	s_delay_alu instid0(SALU_CYCLE_1) | instskip(SKIP_1) | instid1(SALU_CYCLE_1)
	s_and_not1_b32 s3, s14, exec_lo
	s_and_b32 s2, s2, exec_lo
	s_or_b32 s14, s3, s2
.LBB0_25:
	s_or_b32 exec_lo, exec_lo, s15
	s_delay_alu instid0(SALU_CYCLE_1)
	s_and_b32 exec_lo, exec_lo, s14
	s_cbranch_execz .LBB0_27
; %bb.26:
	s_load_b64 s[0:1], s[0:1], 0x30
	v_mov_b32_e32 v0, 0
	s_wait_kmcnt 0x0
	global_store_b32 v0, v4, s[0:1]
.LBB0_27:
	s_endpgm
	.section	.rodata,"a",@progbits
	.p2align	6, 0x0
	.amdhsa_kernel _ZN9rocsparseL23check_matrix_ell_deviceILj256EfiEEvT1_S1_S1_PKT0_PKS1_21rocsparse_index_base_22rocsparse_matrix_type_20rocsparse_fill_mode_23rocsparse_storage_mode_P22rocsparse_data_status_
		.amdhsa_group_segment_fixed_size 0
		.amdhsa_private_segment_fixed_size 0
		.amdhsa_kernarg_size 56
		.amdhsa_user_sgpr_count 2
		.amdhsa_user_sgpr_dispatch_ptr 0
		.amdhsa_user_sgpr_queue_ptr 0
		.amdhsa_user_sgpr_kernarg_segment_ptr 1
		.amdhsa_user_sgpr_dispatch_id 0
		.amdhsa_user_sgpr_kernarg_preload_length 0
		.amdhsa_user_sgpr_kernarg_preload_offset 0
		.amdhsa_user_sgpr_private_segment_size 0
		.amdhsa_wavefront_size32 1
		.amdhsa_uses_dynamic_stack 0
		.amdhsa_enable_private_segment 0
		.amdhsa_system_sgpr_workgroup_id_x 1
		.amdhsa_system_sgpr_workgroup_id_y 0
		.amdhsa_system_sgpr_workgroup_id_z 0
		.amdhsa_system_sgpr_workgroup_info 0
		.amdhsa_system_vgpr_workitem_id 0
		.amdhsa_next_free_vgpr 8
		.amdhsa_next_free_sgpr 34
		.amdhsa_named_barrier_count 0
		.amdhsa_reserve_vcc 1
		.amdhsa_float_round_mode_32 0
		.amdhsa_float_round_mode_16_64 0
		.amdhsa_float_denorm_mode_32 3
		.amdhsa_float_denorm_mode_16_64 3
		.amdhsa_fp16_overflow 0
		.amdhsa_memory_ordered 1
		.amdhsa_forward_progress 1
		.amdhsa_inst_pref_size 7
		.amdhsa_round_robin_scheduling 0
		.amdhsa_exception_fp_ieee_invalid_op 0
		.amdhsa_exception_fp_denorm_src 0
		.amdhsa_exception_fp_ieee_div_zero 0
		.amdhsa_exception_fp_ieee_overflow 0
		.amdhsa_exception_fp_ieee_underflow 0
		.amdhsa_exception_fp_ieee_inexact 0
		.amdhsa_exception_int_div_zero 0
	.end_amdhsa_kernel
	.section	.text._ZN9rocsparseL23check_matrix_ell_deviceILj256EfiEEvT1_S1_S1_PKT0_PKS1_21rocsparse_index_base_22rocsparse_matrix_type_20rocsparse_fill_mode_23rocsparse_storage_mode_P22rocsparse_data_status_,"axG",@progbits,_ZN9rocsparseL23check_matrix_ell_deviceILj256EfiEEvT1_S1_S1_PKT0_PKS1_21rocsparse_index_base_22rocsparse_matrix_type_20rocsparse_fill_mode_23rocsparse_storage_mode_P22rocsparse_data_status_,comdat
.Lfunc_end0:
	.size	_ZN9rocsparseL23check_matrix_ell_deviceILj256EfiEEvT1_S1_S1_PKT0_PKS1_21rocsparse_index_base_22rocsparse_matrix_type_20rocsparse_fill_mode_23rocsparse_storage_mode_P22rocsparse_data_status_, .Lfunc_end0-_ZN9rocsparseL23check_matrix_ell_deviceILj256EfiEEvT1_S1_S1_PKT0_PKS1_21rocsparse_index_base_22rocsparse_matrix_type_20rocsparse_fill_mode_23rocsparse_storage_mode_P22rocsparse_data_status_
                                        ; -- End function
	.set _ZN9rocsparseL23check_matrix_ell_deviceILj256EfiEEvT1_S1_S1_PKT0_PKS1_21rocsparse_index_base_22rocsparse_matrix_type_20rocsparse_fill_mode_23rocsparse_storage_mode_P22rocsparse_data_status_.num_vgpr, 8
	.set _ZN9rocsparseL23check_matrix_ell_deviceILj256EfiEEvT1_S1_S1_PKT0_PKS1_21rocsparse_index_base_22rocsparse_matrix_type_20rocsparse_fill_mode_23rocsparse_storage_mode_P22rocsparse_data_status_.num_agpr, 0
	.set _ZN9rocsparseL23check_matrix_ell_deviceILj256EfiEEvT1_S1_S1_PKT0_PKS1_21rocsparse_index_base_22rocsparse_matrix_type_20rocsparse_fill_mode_23rocsparse_storage_mode_P22rocsparse_data_status_.numbered_sgpr, 34
	.set _ZN9rocsparseL23check_matrix_ell_deviceILj256EfiEEvT1_S1_S1_PKT0_PKS1_21rocsparse_index_base_22rocsparse_matrix_type_20rocsparse_fill_mode_23rocsparse_storage_mode_P22rocsparse_data_status_.num_named_barrier, 0
	.set _ZN9rocsparseL23check_matrix_ell_deviceILj256EfiEEvT1_S1_S1_PKT0_PKS1_21rocsparse_index_base_22rocsparse_matrix_type_20rocsparse_fill_mode_23rocsparse_storage_mode_P22rocsparse_data_status_.private_seg_size, 0
	.set _ZN9rocsparseL23check_matrix_ell_deviceILj256EfiEEvT1_S1_S1_PKT0_PKS1_21rocsparse_index_base_22rocsparse_matrix_type_20rocsparse_fill_mode_23rocsparse_storage_mode_P22rocsparse_data_status_.uses_vcc, 1
	.set _ZN9rocsparseL23check_matrix_ell_deviceILj256EfiEEvT1_S1_S1_PKT0_PKS1_21rocsparse_index_base_22rocsparse_matrix_type_20rocsparse_fill_mode_23rocsparse_storage_mode_P22rocsparse_data_status_.uses_flat_scratch, 0
	.set _ZN9rocsparseL23check_matrix_ell_deviceILj256EfiEEvT1_S1_S1_PKT0_PKS1_21rocsparse_index_base_22rocsparse_matrix_type_20rocsparse_fill_mode_23rocsparse_storage_mode_P22rocsparse_data_status_.has_dyn_sized_stack, 0
	.set _ZN9rocsparseL23check_matrix_ell_deviceILj256EfiEEvT1_S1_S1_PKT0_PKS1_21rocsparse_index_base_22rocsparse_matrix_type_20rocsparse_fill_mode_23rocsparse_storage_mode_P22rocsparse_data_status_.has_recursion, 0
	.set _ZN9rocsparseL23check_matrix_ell_deviceILj256EfiEEvT1_S1_S1_PKT0_PKS1_21rocsparse_index_base_22rocsparse_matrix_type_20rocsparse_fill_mode_23rocsparse_storage_mode_P22rocsparse_data_status_.has_indirect_call, 0
	.section	.AMDGPU.csdata,"",@progbits
; Kernel info:
; codeLenInByte = 864
; TotalNumSgprs: 36
; NumVgprs: 8
; ScratchSize: 0
; MemoryBound: 0
; FloatMode: 240
; IeeeMode: 1
; LDSByteSize: 0 bytes/workgroup (compile time only)
; SGPRBlocks: 0
; VGPRBlocks: 0
; NumSGPRsForWavesPerEU: 36
; NumVGPRsForWavesPerEU: 8
; NamedBarCnt: 0
; Occupancy: 16
; WaveLimiterHint : 0
; COMPUTE_PGM_RSRC2:SCRATCH_EN: 0
; COMPUTE_PGM_RSRC2:USER_SGPR: 2
; COMPUTE_PGM_RSRC2:TRAP_HANDLER: 0
; COMPUTE_PGM_RSRC2:TGID_X_EN: 1
; COMPUTE_PGM_RSRC2:TGID_Y_EN: 0
; COMPUTE_PGM_RSRC2:TGID_Z_EN: 0
; COMPUTE_PGM_RSRC2:TIDIG_COMP_CNT: 0
	.section	.text._ZN9rocsparseL23check_matrix_ell_deviceILj256EdiEEvT1_S1_S1_PKT0_PKS1_21rocsparse_index_base_22rocsparse_matrix_type_20rocsparse_fill_mode_23rocsparse_storage_mode_P22rocsparse_data_status_,"axG",@progbits,_ZN9rocsparseL23check_matrix_ell_deviceILj256EdiEEvT1_S1_S1_PKT0_PKS1_21rocsparse_index_base_22rocsparse_matrix_type_20rocsparse_fill_mode_23rocsparse_storage_mode_P22rocsparse_data_status_,comdat
	.globl	_ZN9rocsparseL23check_matrix_ell_deviceILj256EdiEEvT1_S1_S1_PKT0_PKS1_21rocsparse_index_base_22rocsparse_matrix_type_20rocsparse_fill_mode_23rocsparse_storage_mode_P22rocsparse_data_status_ ; -- Begin function _ZN9rocsparseL23check_matrix_ell_deviceILj256EdiEEvT1_S1_S1_PKT0_PKS1_21rocsparse_index_base_22rocsparse_matrix_type_20rocsparse_fill_mode_23rocsparse_storage_mode_P22rocsparse_data_status_
	.p2align	8
	.type	_ZN9rocsparseL23check_matrix_ell_deviceILj256EdiEEvT1_S1_S1_PKT0_PKS1_21rocsparse_index_base_22rocsparse_matrix_type_20rocsparse_fill_mode_23rocsparse_storage_mode_P22rocsparse_data_status_,@function
_ZN9rocsparseL23check_matrix_ell_deviceILj256EdiEEvT1_S1_S1_PKT0_PKS1_21rocsparse_index_base_22rocsparse_matrix_type_20rocsparse_fill_mode_23rocsparse_storage_mode_P22rocsparse_data_status_: ; @_ZN9rocsparseL23check_matrix_ell_deviceILj256EdiEEvT1_S1_S1_PKT0_PKS1_21rocsparse_index_base_22rocsparse_matrix_type_20rocsparse_fill_mode_23rocsparse_storage_mode_P22rocsparse_data_status_
; %bb.0:
	s_load_b96 s[4:6], s[0:1], 0x0
	s_bfe_u32 s2, ttmp6, 0x4000c
	s_and_b32 s3, ttmp6, 15
	s_add_co_i32 s2, s2, 1
	s_getreg_b32 s7, hwreg(HW_REG_IB_STS2, 6, 4)
	s_mul_i32 s2, ttmp9, s2
	s_delay_alu instid0(SALU_CYCLE_1) | instskip(SKIP_2) | instid1(SALU_CYCLE_1)
	s_add_co_i32 s3, s3, s2
	s_cmp_eq_u32 s7, 0
	s_cselect_b32 s2, ttmp9, s3
	v_lshl_or_b32 v4, s2, 8, v0
	s_wait_kmcnt 0x0
	s_delay_alu instid0(VALU_DEP_1) | instskip(SKIP_2) | instid1(SALU_CYCLE_1)
	v_cmp_gt_i32_e32 vcc_lo, s4, v4
	s_cmp_gt_i32 s6, 0
	s_cselect_b32 s2, -1, 0
	s_and_b32 s2, vcc_lo, s2
	s_delay_alu instid0(SALU_CYCLE_1)
	s_and_saveexec_b32 s3, s2
	s_cbranch_execz .LBB1_27
; %bb.1:
	s_load_b64 s[12:13], s[0:1], 0x18
	s_wait_kmcnt 0x0
	global_load_b32 v0, v4, s[12:13] scale_offset
	s_wait_loadcnt 0x0
	v_cmp_ne_u32_e32 vcc_lo, -1, v0
	s_and_b32 exec_lo, exec_lo, vcc_lo
	s_cbranch_execz .LBB1_27
; %bb.2:
	s_load_b32 s19, s[0:1], 0x20
	v_mov_b32_e32 v8, 4
	s_wait_kmcnt 0x0
	v_subrev_nc_u32_e32 v0, s19, v0
	s_delay_alu instid0(VALU_DEP_1) | instskip(SKIP_2) | instid1(SALU_CYCLE_1)
	v_cmp_lt_i32_e32 vcc_lo, -1, v0
	v_cmp_gt_i32_e64 s2, s5, v0
	s_and_b32 s2, vcc_lo, s2
	s_xor_b32 s16, s2, -1
	s_and_saveexec_b32 s17, s2
	s_cbranch_execz .LBB1_25
; %bb.3:
	s_load_b64 s[14:15], s[0:1], 0x10
	v_dual_mov_b32 v8, 1 :: v_dual_ashrrev_i32 v5, 31, v4
	s_mov_b32 s18, exec_lo
	s_wait_kmcnt 0x0
	s_delay_alu instid0(VALU_DEP_1)
	v_lshl_add_u64 v[0:1], v[4:5], 3, s[14:15]
	global_load_b64 v[0:1], v[0:1], off
	s_wait_loadcnt 0x0
	v_cmp_eq_f64_e64 s2, 0x7ff00000, v[0:1]
	v_cmpx_neq_f64_e32 0x7ff00000, v[0:1]
	s_cbranch_execz .LBB1_24
; %bb.4:
	v_mov_b32_e32 v8, 2
	s_mov_b32 s3, -1
	s_mov_b32 s20, exec_lo
	v_cmpx_o_f64_e32 v[0:1], v[0:1]
	s_cbranch_execz .LBB1_23
; %bb.5:
	s_cmp_lg_u32 s6, 1
	s_cbranch_scc0 .LBB1_20
; %bb.6:
	s_load_b32 s3, s[0:1], 0x2c
	s_mov_b32 s10, s4
	v_lshl_add_u64 v[0:1], v[4:5], 2, s[12:13]
                                        ; implicit-def: $sgpr23
	s_wait_kmcnt 0x0
	s_cmp_eq_u32 s3, 0
	s_cselect_b32 s21, -1, 0
	s_cmp_lg_u32 s3, 0
	s_cselect_b32 s22, -1, 0
	s_ashr_i32 s11, s4, 31
	s_delay_alu instid0(SALU_CYCLE_1)
	s_lshl_b64 s[8:9], s[10:11], 3
	s_lshl_b64 s[10:11], s[10:11], 2
	s_add_nc_u64 s[14:15], s[14:15], s[8:9]
	s_add_nc_u64 s[12:13], s[12:13], s[10:11]
	v_lshl_add_u64 v[2:3], v[4:5], 3, s[14:15]
	v_lshl_add_u64 v[4:5], v[4:5], 2, s[12:13]
	s_mov_b32 s13, 0
	s_add_co_i32 s14, s6, -1
	s_mov_b32 s6, 0
                                        ; implicit-def: $sgpr12
                                        ; implicit-def: $sgpr15
	s_branch .LBB1_12
.LBB1_7:                                ;   in Loop: Header=BB1_12 Depth=1
	s_or_b32 exec_lo, exec_lo, s29
	v_mov_b32_e32 v8, s7
	s_and_b32 s27, s27, exec_lo
	s_or_not1_b32 s7, s28, exec_lo
.LBB1_8:                                ;   in Loop: Header=BB1_12 Depth=1
	s_or_b32 exec_lo, exec_lo, s26
	s_delay_alu instid0(SALU_CYCLE_1)
	s_and_b32 s26, s27, exec_lo
	s_or_not1_b32 s7, s7, exec_lo
.LBB1_9:                                ;   in Loop: Header=BB1_12 Depth=1
	s_or_b32 exec_lo, exec_lo, s25
	s_delay_alu instid0(SALU_CYCLE_1)
	s_and_b32 s25, s26, exec_lo
	s_or_not1_b32 s7, s7, exec_lo
.LBB1_10:                               ;   in Loop: Header=BB1_12 Depth=1
	s_or_b32 exec_lo, exec_lo, s3
	s_delay_alu instid0(SALU_CYCLE_1)
	s_and_not1_b32 s3, s23, exec_lo
	s_and_b32 s23, s25, exec_lo
	s_and_not1_b32 s15, s15, exec_lo
	s_and_b32 s7, s7, exec_lo
	s_or_b32 s23, s3, s23
	s_or_b32 s15, s15, s7
.LBB1_11:                               ;   in Loop: Header=BB1_12 Depth=1
	s_or_b32 exec_lo, exec_lo, s24
	s_xor_b32 s3, s23, -1
	s_and_b32 s7, exec_lo, s15
	s_delay_alu instid0(SALU_CYCLE_1) | instskip(SKIP_2) | instid1(SALU_CYCLE_1)
	s_or_b32 s13, s7, s13
	s_and_not1_b32 s7, s12, exec_lo
	s_and_b32 s3, s3, exec_lo
	s_or_b32 s12, s7, s3
	s_and_not1_b32 exec_lo, exec_lo, s13
	s_cbranch_execz .LBB1_21
.LBB1_12:                               ; =>This Inner Loop Header: Depth=1
	global_load_b32 v9, v[4:5], off
	s_or_b32 s23, s23, exec_lo
	s_or_b32 s15, s15, exec_lo
	s_mov_b32 s24, exec_lo
                                        ; implicit-def: $vgpr8
	s_wait_loadcnt 0x0
	v_cmpx_ne_u32_e32 -1, v9
	s_cbranch_execz .LBB1_11
; %bb.13:                               ;   in Loop: Header=BB1_12 Depth=1
	v_subrev_nc_u32_e32 v6, s19, v9
	v_mov_b32_e32 v8, 4
	s_mov_b32 s7, -1
	s_mov_b32 s25, 0
	s_delay_alu instid0(VALU_DEP_2) | instskip(SKIP_2) | instid1(SALU_CYCLE_1)
	v_cmp_lt_i32_e32 vcc_lo, -1, v6
	v_cmp_gt_i32_e64 s3, s5, v6
	s_and_b32 s26, vcc_lo, s3
	s_and_saveexec_b32 s3, s26
	s_cbranch_execz .LBB1_10
; %bb.14:                               ;   in Loop: Header=BB1_12 Depth=1
	global_load_b64 v[6:7], v[2:3], off
	v_mov_b32_e32 v8, 1
	s_mov_b32 s26, 0
	s_mov_b32 s25, exec_lo
	s_wait_loadcnt 0x0
	v_cmpx_neq_f64_e32 0x7ff00000, v[6:7]
	s_cbranch_execz .LBB1_9
; %bb.15:                               ;   in Loop: Header=BB1_12 Depth=1
	v_mov_b32_e32 v8, 2
	s_mov_b32 s27, 0
	s_mov_b32 s26, exec_lo
	v_cmpx_o_f64_e32 v[6:7], v[6:7]
	s_cbranch_execz .LBB1_8
; %bb.16:                               ;   in Loop: Header=BB1_12 Depth=1
	s_mov_b32 s7, 2
	s_and_b32 vcc_lo, exec_lo, s21
	s_mov_b32 s30, s22
	s_cbranch_vccz .LBB1_18
; %bb.17:                               ;   in Loop: Header=BB1_12 Depth=1
	s_ashr_i32 s7, s6, 31
	s_and_not1_b32 s27, s22, exec_lo
	v_lshl_add_u64 v[6:7], s[6:7], 2, v[0:1]
	s_mov_b32 s7, 6
	global_load_b32 v6, v[6:7], off
	s_wait_loadcnt 0x0
	v_cmp_lt_i32_e32 vcc_lo, v6, v9
	s_and_b32 s28, vcc_lo, exec_lo
	s_delay_alu instid0(SALU_CYCLE_1)
	s_or_b32 s30, s27, s28
.LBB1_18:                               ;   in Loop: Header=BB1_12 Depth=1
	s_mov_b32 s28, -1
	s_mov_b32 s27, 0
	s_and_saveexec_b32 s29, s30
	s_cbranch_execz .LBB1_7
; %bb.19:                               ;   in Loop: Header=BB1_12 Depth=1
	s_add_co_i32 s14, s14, -1
	v_add_nc_u64_e32 v[2:3], s[8:9], v[2:3]
	v_add_nc_u64_e32 v[4:5], s[10:11], v[4:5]
	s_add_co_i32 s6, s6, s4
	s_cmp_eq_u32 s14, 0
	s_mov_b32 s27, exec_lo
	s_cselect_b32 s28, -1, 0
	s_delay_alu instid0(SALU_CYCLE_1)
	s_or_not1_b32 s28, s28, exec_lo
	s_branch .LBB1_7
.LBB1_20:
	v_mov_b32_e32 v8, 2
	s_mov_b32 s12, 0
	s_branch .LBB1_22
.LBB1_21:
	s_or_b32 exec_lo, exec_lo, s13
.LBB1_22:
	s_delay_alu instid0(SALU_CYCLE_1)
	s_or_not1_b32 s3, s12, exec_lo
.LBB1_23:
	s_or_b32 exec_lo, exec_lo, s20
	s_delay_alu instid0(SALU_CYCLE_1) | instskip(SKIP_1) | instid1(SALU_CYCLE_1)
	s_and_not1_b32 s2, s2, exec_lo
	s_and_b32 s3, s3, exec_lo
	s_or_b32 s2, s2, s3
.LBB1_24:
	s_or_b32 exec_lo, exec_lo, s18
	s_delay_alu instid0(SALU_CYCLE_1) | instskip(SKIP_1) | instid1(SALU_CYCLE_1)
	s_and_not1_b32 s3, s16, exec_lo
	s_and_b32 s2, s2, exec_lo
	s_or_b32 s16, s3, s2
.LBB1_25:
	s_or_b32 exec_lo, exec_lo, s17
	s_delay_alu instid0(SALU_CYCLE_1)
	s_and_b32 exec_lo, exec_lo, s16
	s_cbranch_execz .LBB1_27
; %bb.26:
	s_load_b64 s[0:1], s[0:1], 0x30
	v_mov_b32_e32 v0, 0
	s_wait_kmcnt 0x0
	global_store_b32 v0, v8, s[0:1]
.LBB1_27:
	s_endpgm
	.section	.rodata,"a",@progbits
	.p2align	6, 0x0
	.amdhsa_kernel _ZN9rocsparseL23check_matrix_ell_deviceILj256EdiEEvT1_S1_S1_PKT0_PKS1_21rocsparse_index_base_22rocsparse_matrix_type_20rocsparse_fill_mode_23rocsparse_storage_mode_P22rocsparse_data_status_
		.amdhsa_group_segment_fixed_size 0
		.amdhsa_private_segment_fixed_size 0
		.amdhsa_kernarg_size 56
		.amdhsa_user_sgpr_count 2
		.amdhsa_user_sgpr_dispatch_ptr 0
		.amdhsa_user_sgpr_queue_ptr 0
		.amdhsa_user_sgpr_kernarg_segment_ptr 1
		.amdhsa_user_sgpr_dispatch_id 0
		.amdhsa_user_sgpr_kernarg_preload_length 0
		.amdhsa_user_sgpr_kernarg_preload_offset 0
		.amdhsa_user_sgpr_private_segment_size 0
		.amdhsa_wavefront_size32 1
		.amdhsa_uses_dynamic_stack 0
		.amdhsa_enable_private_segment 0
		.amdhsa_system_sgpr_workgroup_id_x 1
		.amdhsa_system_sgpr_workgroup_id_y 0
		.amdhsa_system_sgpr_workgroup_id_z 0
		.amdhsa_system_sgpr_workgroup_info 0
		.amdhsa_system_vgpr_workitem_id 0
		.amdhsa_next_free_vgpr 10
		.amdhsa_next_free_sgpr 31
		.amdhsa_named_barrier_count 0
		.amdhsa_reserve_vcc 1
		.amdhsa_float_round_mode_32 0
		.amdhsa_float_round_mode_16_64 0
		.amdhsa_float_denorm_mode_32 3
		.amdhsa_float_denorm_mode_16_64 3
		.amdhsa_fp16_overflow 0
		.amdhsa_memory_ordered 1
		.amdhsa_forward_progress 1
		.amdhsa_inst_pref_size 7
		.amdhsa_round_robin_scheduling 0
		.amdhsa_exception_fp_ieee_invalid_op 0
		.amdhsa_exception_fp_denorm_src 0
		.amdhsa_exception_fp_ieee_div_zero 0
		.amdhsa_exception_fp_ieee_overflow 0
		.amdhsa_exception_fp_ieee_underflow 0
		.amdhsa_exception_fp_ieee_inexact 0
		.amdhsa_exception_int_div_zero 0
	.end_amdhsa_kernel
	.section	.text._ZN9rocsparseL23check_matrix_ell_deviceILj256EdiEEvT1_S1_S1_PKT0_PKS1_21rocsparse_index_base_22rocsparse_matrix_type_20rocsparse_fill_mode_23rocsparse_storage_mode_P22rocsparse_data_status_,"axG",@progbits,_ZN9rocsparseL23check_matrix_ell_deviceILj256EdiEEvT1_S1_S1_PKT0_PKS1_21rocsparse_index_base_22rocsparse_matrix_type_20rocsparse_fill_mode_23rocsparse_storage_mode_P22rocsparse_data_status_,comdat
.Lfunc_end1:
	.size	_ZN9rocsparseL23check_matrix_ell_deviceILj256EdiEEvT1_S1_S1_PKT0_PKS1_21rocsparse_index_base_22rocsparse_matrix_type_20rocsparse_fill_mode_23rocsparse_storage_mode_P22rocsparse_data_status_, .Lfunc_end1-_ZN9rocsparseL23check_matrix_ell_deviceILj256EdiEEvT1_S1_S1_PKT0_PKS1_21rocsparse_index_base_22rocsparse_matrix_type_20rocsparse_fill_mode_23rocsparse_storage_mode_P22rocsparse_data_status_
                                        ; -- End function
	.set _ZN9rocsparseL23check_matrix_ell_deviceILj256EdiEEvT1_S1_S1_PKT0_PKS1_21rocsparse_index_base_22rocsparse_matrix_type_20rocsparse_fill_mode_23rocsparse_storage_mode_P22rocsparse_data_status_.num_vgpr, 10
	.set _ZN9rocsparseL23check_matrix_ell_deviceILj256EdiEEvT1_S1_S1_PKT0_PKS1_21rocsparse_index_base_22rocsparse_matrix_type_20rocsparse_fill_mode_23rocsparse_storage_mode_P22rocsparse_data_status_.num_agpr, 0
	.set _ZN9rocsparseL23check_matrix_ell_deviceILj256EdiEEvT1_S1_S1_PKT0_PKS1_21rocsparse_index_base_22rocsparse_matrix_type_20rocsparse_fill_mode_23rocsparse_storage_mode_P22rocsparse_data_status_.numbered_sgpr, 31
	.set _ZN9rocsparseL23check_matrix_ell_deviceILj256EdiEEvT1_S1_S1_PKT0_PKS1_21rocsparse_index_base_22rocsparse_matrix_type_20rocsparse_fill_mode_23rocsparse_storage_mode_P22rocsparse_data_status_.num_named_barrier, 0
	.set _ZN9rocsparseL23check_matrix_ell_deviceILj256EdiEEvT1_S1_S1_PKT0_PKS1_21rocsparse_index_base_22rocsparse_matrix_type_20rocsparse_fill_mode_23rocsparse_storage_mode_P22rocsparse_data_status_.private_seg_size, 0
	.set _ZN9rocsparseL23check_matrix_ell_deviceILj256EdiEEvT1_S1_S1_PKT0_PKS1_21rocsparse_index_base_22rocsparse_matrix_type_20rocsparse_fill_mode_23rocsparse_storage_mode_P22rocsparse_data_status_.uses_vcc, 1
	.set _ZN9rocsparseL23check_matrix_ell_deviceILj256EdiEEvT1_S1_S1_PKT0_PKS1_21rocsparse_index_base_22rocsparse_matrix_type_20rocsparse_fill_mode_23rocsparse_storage_mode_P22rocsparse_data_status_.uses_flat_scratch, 0
	.set _ZN9rocsparseL23check_matrix_ell_deviceILj256EdiEEvT1_S1_S1_PKT0_PKS1_21rocsparse_index_base_22rocsparse_matrix_type_20rocsparse_fill_mode_23rocsparse_storage_mode_P22rocsparse_data_status_.has_dyn_sized_stack, 0
	.set _ZN9rocsparseL23check_matrix_ell_deviceILj256EdiEEvT1_S1_S1_PKT0_PKS1_21rocsparse_index_base_22rocsparse_matrix_type_20rocsparse_fill_mode_23rocsparse_storage_mode_P22rocsparse_data_status_.has_recursion, 0
	.set _ZN9rocsparseL23check_matrix_ell_deviceILj256EdiEEvT1_S1_S1_PKT0_PKS1_21rocsparse_index_base_22rocsparse_matrix_type_20rocsparse_fill_mode_23rocsparse_storage_mode_P22rocsparse_data_status_.has_indirect_call, 0
	.section	.AMDGPU.csdata,"",@progbits
; Kernel info:
; codeLenInByte = 880
; TotalNumSgprs: 33
; NumVgprs: 10
; ScratchSize: 0
; MemoryBound: 0
; FloatMode: 240
; IeeeMode: 1
; LDSByteSize: 0 bytes/workgroup (compile time only)
; SGPRBlocks: 0
; VGPRBlocks: 0
; NumSGPRsForWavesPerEU: 33
; NumVGPRsForWavesPerEU: 10
; NamedBarCnt: 0
; Occupancy: 16
; WaveLimiterHint : 0
; COMPUTE_PGM_RSRC2:SCRATCH_EN: 0
; COMPUTE_PGM_RSRC2:USER_SGPR: 2
; COMPUTE_PGM_RSRC2:TRAP_HANDLER: 0
; COMPUTE_PGM_RSRC2:TGID_X_EN: 1
; COMPUTE_PGM_RSRC2:TGID_Y_EN: 0
; COMPUTE_PGM_RSRC2:TGID_Z_EN: 0
; COMPUTE_PGM_RSRC2:TIDIG_COMP_CNT: 0
	.section	.text._ZN9rocsparseL23check_matrix_ell_deviceILj256E21rocsparse_complex_numIfEiEEvT1_S3_S3_PKT0_PKS3_21rocsparse_index_base_22rocsparse_matrix_type_20rocsparse_fill_mode_23rocsparse_storage_mode_P22rocsparse_data_status_,"axG",@progbits,_ZN9rocsparseL23check_matrix_ell_deviceILj256E21rocsparse_complex_numIfEiEEvT1_S3_S3_PKT0_PKS3_21rocsparse_index_base_22rocsparse_matrix_type_20rocsparse_fill_mode_23rocsparse_storage_mode_P22rocsparse_data_status_,comdat
	.globl	_ZN9rocsparseL23check_matrix_ell_deviceILj256E21rocsparse_complex_numIfEiEEvT1_S3_S3_PKT0_PKS3_21rocsparse_index_base_22rocsparse_matrix_type_20rocsparse_fill_mode_23rocsparse_storage_mode_P22rocsparse_data_status_ ; -- Begin function _ZN9rocsparseL23check_matrix_ell_deviceILj256E21rocsparse_complex_numIfEiEEvT1_S3_S3_PKT0_PKS3_21rocsparse_index_base_22rocsparse_matrix_type_20rocsparse_fill_mode_23rocsparse_storage_mode_P22rocsparse_data_status_
	.p2align	8
	.type	_ZN9rocsparseL23check_matrix_ell_deviceILj256E21rocsparse_complex_numIfEiEEvT1_S3_S3_PKT0_PKS3_21rocsparse_index_base_22rocsparse_matrix_type_20rocsparse_fill_mode_23rocsparse_storage_mode_P22rocsparse_data_status_,@function
_ZN9rocsparseL23check_matrix_ell_deviceILj256E21rocsparse_complex_numIfEiEEvT1_S3_S3_PKT0_PKS3_21rocsparse_index_base_22rocsparse_matrix_type_20rocsparse_fill_mode_23rocsparse_storage_mode_P22rocsparse_data_status_: ; @_ZN9rocsparseL23check_matrix_ell_deviceILj256E21rocsparse_complex_numIfEiEEvT1_S3_S3_PKT0_PKS3_21rocsparse_index_base_22rocsparse_matrix_type_20rocsparse_fill_mode_23rocsparse_storage_mode_P22rocsparse_data_status_
; %bb.0:
	s_load_b96 s[4:6], s[0:1], 0x0
	s_bfe_u32 s2, ttmp6, 0x4000c
	s_and_b32 s3, ttmp6, 15
	s_add_co_i32 s2, s2, 1
	s_getreg_b32 s7, hwreg(HW_REG_IB_STS2, 6, 4)
	s_mul_i32 s2, ttmp9, s2
	s_delay_alu instid0(SALU_CYCLE_1) | instskip(SKIP_2) | instid1(SALU_CYCLE_1)
	s_add_co_i32 s3, s3, s2
	s_cmp_eq_u32 s7, 0
	s_cselect_b32 s2, ttmp9, s3
	v_lshl_or_b32 v4, s2, 8, v0
	s_wait_kmcnt 0x0
	s_delay_alu instid0(VALU_DEP_1) | instskip(SKIP_2) | instid1(SALU_CYCLE_1)
	v_cmp_gt_i32_e32 vcc_lo, s4, v4
	s_cmp_gt_i32 s6, 0
	s_cselect_b32 s2, -1, 0
	s_and_b32 s2, vcc_lo, s2
	s_delay_alu instid0(SALU_CYCLE_1)
	s_and_saveexec_b32 s3, s2
	s_cbranch_execz .LBB2_27
; %bb.1:
	s_load_b64 s[12:13], s[0:1], 0x18
	s_wait_kmcnt 0x0
	global_load_b32 v0, v4, s[12:13] scale_offset
	s_wait_loadcnt 0x0
	v_cmp_ne_u32_e32 vcc_lo, -1, v0
	s_and_b32 exec_lo, exec_lo, vcc_lo
	s_cbranch_execz .LBB2_27
; %bb.2:
	s_load_b32 s16, s[0:1], 0x20
	v_mov_b32_e32 v8, 4
	s_wait_kmcnt 0x0
	v_subrev_nc_u32_e32 v0, s16, v0
	s_delay_alu instid0(VALU_DEP_1) | instskip(SKIP_2) | instid1(SALU_CYCLE_1)
	v_cmp_lt_i32_e32 vcc_lo, -1, v0
	v_cmp_gt_i32_e64 s2, s5, v0
	s_and_b32 s2, vcc_lo, s2
	s_xor_b32 s3, s2, -1
	s_and_saveexec_b32 s14, s2
	s_cbranch_execz .LBB2_25
; %bb.3:
	s_load_b64 s[10:11], s[0:1], 0x10
	v_dual_mov_b32 v8, 1 :: v_dual_ashrrev_i32 v5, 31, v4
	s_wait_kmcnt 0x0
	s_delay_alu instid0(VALU_DEP_1)
	v_lshl_add_u64 v[0:1], v[4:5], 3, s[10:11]
	global_load_b64 v[0:1], v[0:1], off
	s_wait_loadcnt 0x0
	v_cmp_eq_f32_e32 vcc_lo, 0x7f800000, v0
	v_cmp_eq_f32_e64 s2, 0x7f800000, v1
	s_or_b32 s15, vcc_lo, s2
	s_mov_b32 s2, -1
	s_xor_b32 s7, s15, -1
	s_delay_alu instid0(SALU_CYCLE_1)
	s_and_saveexec_b32 s17, s7
	s_cbranch_execz .LBB2_24
; %bb.4:
	v_mov_b32_e32 v8, 2
	s_mov_b32 s18, exec_lo
	v_cmpx_o_f32_e32 v0, v1
	s_cbranch_execz .LBB2_23
; %bb.5:
	s_cmp_lg_u32 s6, 1
	s_cbranch_scc0 .LBB2_20
; %bb.6:
	s_load_b32 s2, s[0:1], 0x2c
	s_mov_b32 s22, s4
	v_lshl_add_u64 v[2:3], v[4:5], 2, s[12:13]
	s_wait_kmcnt 0x0
	s_cmp_eq_u32 s2, 0
	s_cselect_b32 s19, -1, 0
	s_cmp_lg_u32 s2, 0
	s_cselect_b32 s20, -1, 0
	s_ashr_i32 s23, s4, 31
	s_add_co_i32 s21, s6, -1
	s_lshl_b64 s[8:9], s[22:23], 3
	s_mov_b32 s6, 0
	s_add_nc_u64 s[10:11], s[10:11], s[8:9]
	s_delay_alu instid0(SALU_CYCLE_1) | instskip(SKIP_1) | instid1(SALU_CYCLE_1)
	v_lshl_add_u64 v[0:1], v[4:5], 3, s[10:11]
	s_lshl_b64 s[10:11], s[22:23], 2
	s_add_nc_u64 s[22:23], s[12:13], s[10:11]
	s_mov_b32 s13, 0
	s_delay_alu instid0(VALU_DEP_1)
	v_add_nc_u64_e32 v[0:1], 4, v[0:1]
	v_lshl_add_u64 v[4:5], v[4:5], 2, s[22:23]
                                        ; implicit-def: $sgpr12
                                        ; implicit-def: $sgpr22
                                        ; implicit-def: $sgpr23
	s_branch .LBB2_12
.LBB2_7:                                ;   in Loop: Header=BB2_12 Depth=1
	s_or_b32 exec_lo, exec_lo, s29
	v_mov_b32_e32 v8, s7
	s_and_b32 s27, s27, exec_lo
	s_or_not1_b32 s7, s28, exec_lo
.LBB2_8:                                ;   in Loop: Header=BB2_12 Depth=1
	s_or_b32 exec_lo, exec_lo, s26
	s_delay_alu instid0(SALU_CYCLE_1)
	s_and_b32 s26, s27, exec_lo
	s_or_not1_b32 s7, s7, exec_lo
.LBB2_9:                                ;   in Loop: Header=BB2_12 Depth=1
	s_or_b32 exec_lo, exec_lo, s2
	s_delay_alu instid0(SALU_CYCLE_1)
	s_and_b32 s2, s26, exec_lo
	s_or_not1_b32 s7, s7, exec_lo
.LBB2_10:                               ;   in Loop: Header=BB2_12 Depth=1
	s_or_b32 exec_lo, exec_lo, s25
	s_delay_alu instid0(SALU_CYCLE_1)
	s_and_not1_b32 s23, s23, exec_lo
	s_and_b32 s2, s2, exec_lo
	s_and_not1_b32 s22, s22, exec_lo
	s_and_b32 s7, s7, exec_lo
	s_or_b32 s23, s23, s2
	s_or_b32 s22, s22, s7
.LBB2_11:                               ;   in Loop: Header=BB2_12 Depth=1
	s_or_b32 exec_lo, exec_lo, s24
	s_xor_b32 s2, s23, -1
	s_and_b32 s7, exec_lo, s22
	s_delay_alu instid0(SALU_CYCLE_1) | instskip(SKIP_2) | instid1(SALU_CYCLE_1)
	s_or_b32 s13, s7, s13
	s_and_not1_b32 s7, s12, exec_lo
	s_and_b32 s2, s2, exec_lo
	s_or_b32 s12, s7, s2
	s_and_not1_b32 exec_lo, exec_lo, s13
	s_cbranch_execz .LBB2_21
.LBB2_12:                               ; =>This Inner Loop Header: Depth=1
	global_load_b32 v9, v[4:5], off
	s_or_b32 s23, s23, exec_lo
	s_or_b32 s22, s22, exec_lo
	s_mov_b32 s24, exec_lo
                                        ; implicit-def: $vgpr8
	s_wait_loadcnt 0x0
	v_cmpx_ne_u32_e32 -1, v9
	s_cbranch_execz .LBB2_11
; %bb.13:                               ;   in Loop: Header=BB2_12 Depth=1
	v_subrev_nc_u32_e32 v6, s16, v9
	v_mov_b32_e32 v8, 4
	s_mov_b32 s7, -1
	s_delay_alu instid0(VALU_DEP_2)
	v_cmp_lt_i32_e32 vcc_lo, -1, v6
	v_cmp_gt_i32_e64 s2, s5, v6
	s_and_b32 s26, vcc_lo, s2
	s_mov_b32 s2, 0
	s_and_saveexec_b32 s25, s26
	s_cbranch_execz .LBB2_10
; %bb.14:                               ;   in Loop: Header=BB2_12 Depth=1
	global_load_b64 v[6:7], v[0:1], off offset:-4
	v_mov_b32_e32 v8, 1
	s_mov_b32 s26, 0
	s_wait_loadcnt 0x0
	v_cmp_neq_f32_e32 vcc_lo, 0x7f800000, v6
	v_cmp_neq_f32_e64 s2, 0x7f800000, v7
	s_and_b32 s27, vcc_lo, s2
	s_delay_alu instid0(SALU_CYCLE_1)
	s_and_saveexec_b32 s2, s27
	s_cbranch_execz .LBB2_9
; %bb.15:                               ;   in Loop: Header=BB2_12 Depth=1
	v_mov_b32_e32 v8, 2
	s_mov_b32 s27, 0
	s_mov_b32 s26, exec_lo
	v_cmpx_o_f32_e32 v6, v7
	s_cbranch_execz .LBB2_8
; %bb.16:                               ;   in Loop: Header=BB2_12 Depth=1
	s_mov_b32 s7, 2
	s_and_b32 vcc_lo, exec_lo, s19
	s_mov_b32 s30, s20
	s_cbranch_vccz .LBB2_18
; %bb.17:                               ;   in Loop: Header=BB2_12 Depth=1
	s_ashr_i32 s7, s6, 31
	s_and_not1_b32 s27, s20, exec_lo
	v_lshl_add_u64 v[6:7], s[6:7], 2, v[2:3]
	s_mov_b32 s7, 6
	global_load_b32 v6, v[6:7], off
	s_wait_loadcnt 0x0
	v_cmp_lt_i32_e32 vcc_lo, v6, v9
	s_and_b32 s28, vcc_lo, exec_lo
	s_delay_alu instid0(SALU_CYCLE_1)
	s_or_b32 s30, s27, s28
.LBB2_18:                               ;   in Loop: Header=BB2_12 Depth=1
	s_mov_b32 s28, -1
	s_mov_b32 s27, 0
	s_and_saveexec_b32 s29, s30
	s_cbranch_execz .LBB2_7
; %bb.19:                               ;   in Loop: Header=BB2_12 Depth=1
	s_add_co_i32 s21, s21, -1
	v_add_nc_u64_e32 v[0:1], s[8:9], v[0:1]
	v_add_nc_u64_e32 v[4:5], s[10:11], v[4:5]
	s_add_co_i32 s6, s6, s4
	s_cmp_eq_u32 s21, 0
	s_mov_b32 s27, exec_lo
	s_cselect_b32 s28, -1, 0
	s_delay_alu instid0(SALU_CYCLE_1)
	s_or_not1_b32 s28, s28, exec_lo
	s_branch .LBB2_7
.LBB2_20:
	v_mov_b32_e32 v8, 2
	s_mov_b32 s12, 0
	s_branch .LBB2_22
.LBB2_21:
	s_or_b32 exec_lo, exec_lo, s13
.LBB2_22:
	s_delay_alu instid0(SALU_CYCLE_1)
	s_or_not1_b32 s2, s12, exec_lo
.LBB2_23:
	s_or_b32 exec_lo, exec_lo, s18
	s_delay_alu instid0(SALU_CYCLE_1) | instskip(SKIP_1) | instid1(SALU_CYCLE_1)
	s_and_not1_b32 s4, s15, exec_lo
	s_and_b32 s2, s2, exec_lo
	s_or_b32 s15, s4, s2
.LBB2_24:
	s_or_b32 exec_lo, exec_lo, s17
	s_delay_alu instid0(SALU_CYCLE_1) | instskip(SKIP_1) | instid1(SALU_CYCLE_1)
	s_and_not1_b32 s2, s3, exec_lo
	s_and_b32 s3, s15, exec_lo
	s_or_b32 s3, s2, s3
.LBB2_25:
	s_or_b32 exec_lo, exec_lo, s14
	s_delay_alu instid0(SALU_CYCLE_1)
	s_and_b32 exec_lo, exec_lo, s3
	s_cbranch_execz .LBB2_27
; %bb.26:
	s_load_b64 s[0:1], s[0:1], 0x30
	v_mov_b32_e32 v0, 0
	s_wait_kmcnt 0x0
	global_store_b32 v0, v8, s[0:1]
.LBB2_27:
	s_endpgm
	.section	.rodata,"a",@progbits
	.p2align	6, 0x0
	.amdhsa_kernel _ZN9rocsparseL23check_matrix_ell_deviceILj256E21rocsparse_complex_numIfEiEEvT1_S3_S3_PKT0_PKS3_21rocsparse_index_base_22rocsparse_matrix_type_20rocsparse_fill_mode_23rocsparse_storage_mode_P22rocsparse_data_status_
		.amdhsa_group_segment_fixed_size 0
		.amdhsa_private_segment_fixed_size 0
		.amdhsa_kernarg_size 56
		.amdhsa_user_sgpr_count 2
		.amdhsa_user_sgpr_dispatch_ptr 0
		.amdhsa_user_sgpr_queue_ptr 0
		.amdhsa_user_sgpr_kernarg_segment_ptr 1
		.amdhsa_user_sgpr_dispatch_id 0
		.amdhsa_user_sgpr_kernarg_preload_length 0
		.amdhsa_user_sgpr_kernarg_preload_offset 0
		.amdhsa_user_sgpr_private_segment_size 0
		.amdhsa_wavefront_size32 1
		.amdhsa_uses_dynamic_stack 0
		.amdhsa_enable_private_segment 0
		.amdhsa_system_sgpr_workgroup_id_x 1
		.amdhsa_system_sgpr_workgroup_id_y 0
		.amdhsa_system_sgpr_workgroup_id_z 0
		.amdhsa_system_sgpr_workgroup_info 0
		.amdhsa_system_vgpr_workitem_id 0
		.amdhsa_next_free_vgpr 10
		.amdhsa_next_free_sgpr 31
		.amdhsa_named_barrier_count 0
		.amdhsa_reserve_vcc 1
		.amdhsa_float_round_mode_32 0
		.amdhsa_float_round_mode_16_64 0
		.amdhsa_float_denorm_mode_32 3
		.amdhsa_float_denorm_mode_16_64 3
		.amdhsa_fp16_overflow 0
		.amdhsa_memory_ordered 1
		.amdhsa_forward_progress 1
		.amdhsa_inst_pref_size 8
		.amdhsa_round_robin_scheduling 0
		.amdhsa_exception_fp_ieee_invalid_op 0
		.amdhsa_exception_fp_denorm_src 0
		.amdhsa_exception_fp_ieee_div_zero 0
		.amdhsa_exception_fp_ieee_overflow 0
		.amdhsa_exception_fp_ieee_underflow 0
		.amdhsa_exception_fp_ieee_inexact 0
		.amdhsa_exception_int_div_zero 0
	.end_amdhsa_kernel
	.section	.text._ZN9rocsparseL23check_matrix_ell_deviceILj256E21rocsparse_complex_numIfEiEEvT1_S3_S3_PKT0_PKS3_21rocsparse_index_base_22rocsparse_matrix_type_20rocsparse_fill_mode_23rocsparse_storage_mode_P22rocsparse_data_status_,"axG",@progbits,_ZN9rocsparseL23check_matrix_ell_deviceILj256E21rocsparse_complex_numIfEiEEvT1_S3_S3_PKT0_PKS3_21rocsparse_index_base_22rocsparse_matrix_type_20rocsparse_fill_mode_23rocsparse_storage_mode_P22rocsparse_data_status_,comdat
.Lfunc_end2:
	.size	_ZN9rocsparseL23check_matrix_ell_deviceILj256E21rocsparse_complex_numIfEiEEvT1_S3_S3_PKT0_PKS3_21rocsparse_index_base_22rocsparse_matrix_type_20rocsparse_fill_mode_23rocsparse_storage_mode_P22rocsparse_data_status_, .Lfunc_end2-_ZN9rocsparseL23check_matrix_ell_deviceILj256E21rocsparse_complex_numIfEiEEvT1_S3_S3_PKT0_PKS3_21rocsparse_index_base_22rocsparse_matrix_type_20rocsparse_fill_mode_23rocsparse_storage_mode_P22rocsparse_data_status_
                                        ; -- End function
	.set _ZN9rocsparseL23check_matrix_ell_deviceILj256E21rocsparse_complex_numIfEiEEvT1_S3_S3_PKT0_PKS3_21rocsparse_index_base_22rocsparse_matrix_type_20rocsparse_fill_mode_23rocsparse_storage_mode_P22rocsparse_data_status_.num_vgpr, 10
	.set _ZN9rocsparseL23check_matrix_ell_deviceILj256E21rocsparse_complex_numIfEiEEvT1_S3_S3_PKT0_PKS3_21rocsparse_index_base_22rocsparse_matrix_type_20rocsparse_fill_mode_23rocsparse_storage_mode_P22rocsparse_data_status_.num_agpr, 0
	.set _ZN9rocsparseL23check_matrix_ell_deviceILj256E21rocsparse_complex_numIfEiEEvT1_S3_S3_PKT0_PKS3_21rocsparse_index_base_22rocsparse_matrix_type_20rocsparse_fill_mode_23rocsparse_storage_mode_P22rocsparse_data_status_.numbered_sgpr, 31
	.set _ZN9rocsparseL23check_matrix_ell_deviceILj256E21rocsparse_complex_numIfEiEEvT1_S3_S3_PKT0_PKS3_21rocsparse_index_base_22rocsparse_matrix_type_20rocsparse_fill_mode_23rocsparse_storage_mode_P22rocsparse_data_status_.num_named_barrier, 0
	.set _ZN9rocsparseL23check_matrix_ell_deviceILj256E21rocsparse_complex_numIfEiEEvT1_S3_S3_PKT0_PKS3_21rocsparse_index_base_22rocsparse_matrix_type_20rocsparse_fill_mode_23rocsparse_storage_mode_P22rocsparse_data_status_.private_seg_size, 0
	.set _ZN9rocsparseL23check_matrix_ell_deviceILj256E21rocsparse_complex_numIfEiEEvT1_S3_S3_PKT0_PKS3_21rocsparse_index_base_22rocsparse_matrix_type_20rocsparse_fill_mode_23rocsparse_storage_mode_P22rocsparse_data_status_.uses_vcc, 1
	.set _ZN9rocsparseL23check_matrix_ell_deviceILj256E21rocsparse_complex_numIfEiEEvT1_S3_S3_PKT0_PKS3_21rocsparse_index_base_22rocsparse_matrix_type_20rocsparse_fill_mode_23rocsparse_storage_mode_P22rocsparse_data_status_.uses_flat_scratch, 0
	.set _ZN9rocsparseL23check_matrix_ell_deviceILj256E21rocsparse_complex_numIfEiEEvT1_S3_S3_PKT0_PKS3_21rocsparse_index_base_22rocsparse_matrix_type_20rocsparse_fill_mode_23rocsparse_storage_mode_P22rocsparse_data_status_.has_dyn_sized_stack, 0
	.set _ZN9rocsparseL23check_matrix_ell_deviceILj256E21rocsparse_complex_numIfEiEEvT1_S3_S3_PKT0_PKS3_21rocsparse_index_base_22rocsparse_matrix_type_20rocsparse_fill_mode_23rocsparse_storage_mode_P22rocsparse_data_status_.has_recursion, 0
	.set _ZN9rocsparseL23check_matrix_ell_deviceILj256E21rocsparse_complex_numIfEiEEvT1_S3_S3_PKT0_PKS3_21rocsparse_index_base_22rocsparse_matrix_type_20rocsparse_fill_mode_23rocsparse_storage_mode_P22rocsparse_data_status_.has_indirect_call, 0
	.section	.AMDGPU.csdata,"",@progbits
; Kernel info:
; codeLenInByte = 920
; TotalNumSgprs: 33
; NumVgprs: 10
; ScratchSize: 0
; MemoryBound: 0
; FloatMode: 240
; IeeeMode: 1
; LDSByteSize: 0 bytes/workgroup (compile time only)
; SGPRBlocks: 0
; VGPRBlocks: 0
; NumSGPRsForWavesPerEU: 33
; NumVGPRsForWavesPerEU: 10
; NamedBarCnt: 0
; Occupancy: 16
; WaveLimiterHint : 0
; COMPUTE_PGM_RSRC2:SCRATCH_EN: 0
; COMPUTE_PGM_RSRC2:USER_SGPR: 2
; COMPUTE_PGM_RSRC2:TRAP_HANDLER: 0
; COMPUTE_PGM_RSRC2:TGID_X_EN: 1
; COMPUTE_PGM_RSRC2:TGID_Y_EN: 0
; COMPUTE_PGM_RSRC2:TGID_Z_EN: 0
; COMPUTE_PGM_RSRC2:TIDIG_COMP_CNT: 0
	.section	.text._ZN9rocsparseL23check_matrix_ell_deviceILj256E21rocsparse_complex_numIdEiEEvT1_S3_S3_PKT0_PKS3_21rocsparse_index_base_22rocsparse_matrix_type_20rocsparse_fill_mode_23rocsparse_storage_mode_P22rocsparse_data_status_,"axG",@progbits,_ZN9rocsparseL23check_matrix_ell_deviceILj256E21rocsparse_complex_numIdEiEEvT1_S3_S3_PKT0_PKS3_21rocsparse_index_base_22rocsparse_matrix_type_20rocsparse_fill_mode_23rocsparse_storage_mode_P22rocsparse_data_status_,comdat
	.globl	_ZN9rocsparseL23check_matrix_ell_deviceILj256E21rocsparse_complex_numIdEiEEvT1_S3_S3_PKT0_PKS3_21rocsparse_index_base_22rocsparse_matrix_type_20rocsparse_fill_mode_23rocsparse_storage_mode_P22rocsparse_data_status_ ; -- Begin function _ZN9rocsparseL23check_matrix_ell_deviceILj256E21rocsparse_complex_numIdEiEEvT1_S3_S3_PKT0_PKS3_21rocsparse_index_base_22rocsparse_matrix_type_20rocsparse_fill_mode_23rocsparse_storage_mode_P22rocsparse_data_status_
	.p2align	8
	.type	_ZN9rocsparseL23check_matrix_ell_deviceILj256E21rocsparse_complex_numIdEiEEvT1_S3_S3_PKT0_PKS3_21rocsparse_index_base_22rocsparse_matrix_type_20rocsparse_fill_mode_23rocsparse_storage_mode_P22rocsparse_data_status_,@function
_ZN9rocsparseL23check_matrix_ell_deviceILj256E21rocsparse_complex_numIdEiEEvT1_S3_S3_PKT0_PKS3_21rocsparse_index_base_22rocsparse_matrix_type_20rocsparse_fill_mode_23rocsparse_storage_mode_P22rocsparse_data_status_: ; @_ZN9rocsparseL23check_matrix_ell_deviceILj256E21rocsparse_complex_numIdEiEEvT1_S3_S3_PKT0_PKS3_21rocsparse_index_base_22rocsparse_matrix_type_20rocsparse_fill_mode_23rocsparse_storage_mode_P22rocsparse_data_status_
; %bb.0:
	s_load_b96 s[4:6], s[0:1], 0x0
	s_bfe_u32 s2, ttmp6, 0x4000c
	s_and_b32 s3, ttmp6, 15
	s_add_co_i32 s2, s2, 1
	s_getreg_b32 s7, hwreg(HW_REG_IB_STS2, 6, 4)
	s_mul_i32 s2, ttmp9, s2
	s_delay_alu instid0(SALU_CYCLE_1) | instskip(SKIP_2) | instid1(SALU_CYCLE_1)
	s_add_co_i32 s3, s3, s2
	s_cmp_eq_u32 s7, 0
	s_cselect_b32 s2, ttmp9, s3
	v_lshl_or_b32 v8, s2, 8, v0
	s_wait_kmcnt 0x0
	s_delay_alu instid0(VALU_DEP_1) | instskip(SKIP_2) | instid1(SALU_CYCLE_1)
	v_cmp_gt_i32_e32 vcc_lo, s4, v8
	s_cmp_gt_i32 s6, 0
	s_cselect_b32 s2, -1, 0
	s_and_b32 s2, vcc_lo, s2
	s_delay_alu instid0(SALU_CYCLE_1)
	s_and_saveexec_b32 s3, s2
	s_cbranch_execz .LBB3_27
; %bb.1:
	s_load_b64 s[12:13], s[0:1], 0x18
	s_wait_kmcnt 0x0
	global_load_b32 v0, v8, s[12:13] scale_offset
	s_wait_loadcnt 0x0
	v_cmp_ne_u32_e32 vcc_lo, -1, v0
	s_and_b32 exec_lo, exec_lo, vcc_lo
	s_cbranch_execz .LBB3_27
; %bb.2:
	s_load_b32 s15, s[0:1], 0x20
	v_mov_b32_e32 v10, 4
	s_wait_kmcnt 0x0
	v_subrev_nc_u32_e32 v0, s15, v0
	s_delay_alu instid0(VALU_DEP_1) | instskip(SKIP_2) | instid1(SALU_CYCLE_1)
	v_cmp_lt_i32_e32 vcc_lo, -1, v0
	v_cmp_gt_i32_e64 s2, s5, v0
	s_and_b32 s2, vcc_lo, s2
	s_xor_b32 s3, s2, -1
	s_and_saveexec_b32 s14, s2
	s_cbranch_execz .LBB3_25
; %bb.3:
	s_load_b64 s[10:11], s[0:1], 0x10
	v_dual_mov_b32 v10, 1 :: v_dual_ashrrev_i32 v9, 31, v8
	s_wait_kmcnt 0x0
	s_delay_alu instid0(VALU_DEP_1)
	v_lshl_add_u64 v[0:1], v[8:9], 4, s[10:11]
	global_load_b128 v[0:3], v[0:1], off
	s_wait_loadcnt 0x0
	v_cmp_eq_f64_e32 vcc_lo, 0x7ff00000, v[0:1]
	v_cmp_eq_f64_e64 s2, 0x7ff00000, v[2:3]
	s_or_b32 s16, vcc_lo, s2
	s_mov_b32 s2, -1
	s_xor_b32 s7, s16, -1
	s_delay_alu instid0(SALU_CYCLE_1)
	s_and_saveexec_b32 s17, s7
	s_cbranch_execz .LBB3_24
; %bb.4:
	v_mov_b32_e32 v10, 2
	s_mov_b32 s18, exec_lo
	v_cmpx_o_f64_e32 v[0:1], v[2:3]
	s_cbranch_execz .LBB3_23
; %bb.5:
	s_cmp_lg_u32 s6, 1
	s_cbranch_scc0 .LBB3_20
; %bb.6:
	s_load_b32 s2, s[0:1], 0x2c
	s_mov_b32 s22, s4
	v_lshl_add_u64 v[6:7], v[8:9], 2, s[12:13]
	s_wait_kmcnt 0x0
	s_cmp_eq_u32 s2, 0
	s_cselect_b32 s19, -1, 0
	s_cmp_lg_u32 s2, 0
	s_cselect_b32 s20, -1, 0
	s_ashr_i32 s23, s4, 31
	s_add_co_i32 s21, s6, -1
	s_lshl_b64 s[8:9], s[22:23], 4
	s_mov_b32 s6, 0
	s_add_nc_u64 s[10:11], s[10:11], s[8:9]
	s_delay_alu instid0(SALU_CYCLE_1) | instskip(SKIP_1) | instid1(SALU_CYCLE_1)
	v_lshl_add_u64 v[0:1], v[8:9], 4, s[10:11]
	s_lshl_b64 s[10:11], s[22:23], 2
	s_add_nc_u64 s[22:23], s[12:13], s[10:11]
	s_mov_b32 s13, 0
	s_delay_alu instid0(VALU_DEP_1)
	v_add_nc_u64_e32 v[4:5], 8, v[0:1]
	v_lshl_add_u64 v[8:9], v[8:9], 2, s[22:23]
                                        ; implicit-def: $sgpr12
                                        ; implicit-def: $sgpr22
                                        ; implicit-def: $sgpr23
	s_branch .LBB3_12
.LBB3_7:                                ;   in Loop: Header=BB3_12 Depth=1
	s_or_b32 exec_lo, exec_lo, s29
	v_mov_b32_e32 v10, s7
	s_and_b32 s27, s27, exec_lo
	s_or_not1_b32 s7, s28, exec_lo
.LBB3_8:                                ;   in Loop: Header=BB3_12 Depth=1
	s_or_b32 exec_lo, exec_lo, s26
	s_delay_alu instid0(SALU_CYCLE_1)
	s_and_b32 s26, s27, exec_lo
	s_or_not1_b32 s7, s7, exec_lo
.LBB3_9:                                ;   in Loop: Header=BB3_12 Depth=1
	s_or_b32 exec_lo, exec_lo, s2
	s_delay_alu instid0(SALU_CYCLE_1)
	s_and_b32 s2, s26, exec_lo
	s_or_not1_b32 s7, s7, exec_lo
.LBB3_10:                               ;   in Loop: Header=BB3_12 Depth=1
	s_or_b32 exec_lo, exec_lo, s25
	s_delay_alu instid0(SALU_CYCLE_1)
	s_and_not1_b32 s23, s23, exec_lo
	s_and_b32 s2, s2, exec_lo
	s_and_not1_b32 s22, s22, exec_lo
	s_and_b32 s7, s7, exec_lo
	s_or_b32 s23, s23, s2
	s_or_b32 s22, s22, s7
.LBB3_11:                               ;   in Loop: Header=BB3_12 Depth=1
	s_or_b32 exec_lo, exec_lo, s24
	s_xor_b32 s2, s23, -1
	s_and_b32 s7, exec_lo, s22
	s_delay_alu instid0(SALU_CYCLE_1) | instskip(SKIP_2) | instid1(SALU_CYCLE_1)
	s_or_b32 s13, s7, s13
	s_and_not1_b32 s7, s12, exec_lo
	s_and_b32 s2, s2, exec_lo
	s_or_b32 s12, s7, s2
	s_and_not1_b32 exec_lo, exec_lo, s13
	s_cbranch_execz .LBB3_21
.LBB3_12:                               ; =>This Inner Loop Header: Depth=1
	global_load_b32 v11, v[8:9], off
	s_or_b32 s23, s23, exec_lo
	s_or_b32 s22, s22, exec_lo
	s_mov_b32 s24, exec_lo
                                        ; implicit-def: $vgpr10
	s_wait_loadcnt 0x0
	v_cmpx_ne_u32_e32 -1, v11
	s_cbranch_execz .LBB3_11
; %bb.13:                               ;   in Loop: Header=BB3_12 Depth=1
	v_subrev_nc_u32_e32 v0, s15, v11
	v_mov_b32_e32 v10, 4
	s_mov_b32 s7, -1
	s_delay_alu instid0(VALU_DEP_2)
	v_cmp_lt_i32_e32 vcc_lo, -1, v0
	v_cmp_gt_i32_e64 s2, s5, v0
	s_and_b32 s26, vcc_lo, s2
	s_mov_b32 s2, 0
	s_and_saveexec_b32 s25, s26
	s_cbranch_execz .LBB3_10
; %bb.14:                               ;   in Loop: Header=BB3_12 Depth=1
	global_load_b128 v[0:3], v[4:5], off offset:-8
	v_mov_b32_e32 v10, 1
	s_mov_b32 s26, 0
	s_wait_loadcnt 0x0
	v_cmp_neq_f64_e32 vcc_lo, 0x7ff00000, v[0:1]
	v_cmp_neq_f64_e64 s2, 0x7ff00000, v[2:3]
	s_and_b32 s27, vcc_lo, s2
	s_delay_alu instid0(SALU_CYCLE_1)
	s_and_saveexec_b32 s2, s27
	s_cbranch_execz .LBB3_9
; %bb.15:                               ;   in Loop: Header=BB3_12 Depth=1
	v_mov_b32_e32 v10, 2
	s_mov_b32 s27, 0
	s_mov_b32 s26, exec_lo
	v_cmpx_o_f64_e32 v[0:1], v[2:3]
	s_cbranch_execz .LBB3_8
; %bb.16:                               ;   in Loop: Header=BB3_12 Depth=1
	s_mov_b32 s7, 2
	s_and_b32 vcc_lo, exec_lo, s19
	s_mov_b32 s30, s20
	s_cbranch_vccz .LBB3_18
; %bb.17:                               ;   in Loop: Header=BB3_12 Depth=1
	s_ashr_i32 s7, s6, 31
	s_and_not1_b32 s27, s20, exec_lo
	v_lshl_add_u64 v[0:1], s[6:7], 2, v[6:7]
	s_mov_b32 s7, 6
	global_load_b32 v0, v[0:1], off
	s_wait_loadcnt 0x0
	v_cmp_lt_i32_e32 vcc_lo, v0, v11
	s_and_b32 s28, vcc_lo, exec_lo
	s_delay_alu instid0(SALU_CYCLE_1)
	s_or_b32 s30, s27, s28
.LBB3_18:                               ;   in Loop: Header=BB3_12 Depth=1
	s_mov_b32 s28, -1
	s_mov_b32 s27, 0
	s_and_saveexec_b32 s29, s30
	s_cbranch_execz .LBB3_7
; %bb.19:                               ;   in Loop: Header=BB3_12 Depth=1
	s_add_co_i32 s21, s21, -1
	v_add_nc_u64_e32 v[4:5], s[8:9], v[4:5]
	v_add_nc_u64_e32 v[8:9], s[10:11], v[8:9]
	s_add_co_i32 s6, s6, s4
	s_cmp_eq_u32 s21, 0
	s_mov_b32 s27, exec_lo
	s_cselect_b32 s28, -1, 0
	s_delay_alu instid0(SALU_CYCLE_1)
	s_or_not1_b32 s28, s28, exec_lo
	s_branch .LBB3_7
.LBB3_20:
	v_mov_b32_e32 v10, 2
	s_mov_b32 s12, 0
	s_branch .LBB3_22
.LBB3_21:
	s_or_b32 exec_lo, exec_lo, s13
.LBB3_22:
	s_delay_alu instid0(SALU_CYCLE_1)
	s_or_not1_b32 s2, s12, exec_lo
.LBB3_23:
	s_or_b32 exec_lo, exec_lo, s18
	s_delay_alu instid0(SALU_CYCLE_1) | instskip(SKIP_1) | instid1(SALU_CYCLE_1)
	s_and_not1_b32 s4, s16, exec_lo
	s_and_b32 s2, s2, exec_lo
	s_or_b32 s16, s4, s2
.LBB3_24:
	s_or_b32 exec_lo, exec_lo, s17
	s_delay_alu instid0(SALU_CYCLE_1) | instskip(SKIP_1) | instid1(SALU_CYCLE_1)
	s_and_not1_b32 s2, s3, exec_lo
	s_and_b32 s3, s16, exec_lo
	s_or_b32 s3, s2, s3
.LBB3_25:
	s_or_b32 exec_lo, exec_lo, s14
	s_delay_alu instid0(SALU_CYCLE_1)
	s_and_b32 exec_lo, exec_lo, s3
	s_cbranch_execz .LBB3_27
; %bb.26:
	s_load_b64 s[0:1], s[0:1], 0x30
	v_mov_b32_e32 v0, 0
	s_wait_kmcnt 0x0
	global_store_b32 v0, v10, s[0:1]
.LBB3_27:
	s_endpgm
	.section	.rodata,"a",@progbits
	.p2align	6, 0x0
	.amdhsa_kernel _ZN9rocsparseL23check_matrix_ell_deviceILj256E21rocsparse_complex_numIdEiEEvT1_S3_S3_PKT0_PKS3_21rocsparse_index_base_22rocsparse_matrix_type_20rocsparse_fill_mode_23rocsparse_storage_mode_P22rocsparse_data_status_
		.amdhsa_group_segment_fixed_size 0
		.amdhsa_private_segment_fixed_size 0
		.amdhsa_kernarg_size 56
		.amdhsa_user_sgpr_count 2
		.amdhsa_user_sgpr_dispatch_ptr 0
		.amdhsa_user_sgpr_queue_ptr 0
		.amdhsa_user_sgpr_kernarg_segment_ptr 1
		.amdhsa_user_sgpr_dispatch_id 0
		.amdhsa_user_sgpr_kernarg_preload_length 0
		.amdhsa_user_sgpr_kernarg_preload_offset 0
		.amdhsa_user_sgpr_private_segment_size 0
		.amdhsa_wavefront_size32 1
		.amdhsa_uses_dynamic_stack 0
		.amdhsa_enable_private_segment 0
		.amdhsa_system_sgpr_workgroup_id_x 1
		.amdhsa_system_sgpr_workgroup_id_y 0
		.amdhsa_system_sgpr_workgroup_id_z 0
		.amdhsa_system_sgpr_workgroup_info 0
		.amdhsa_system_vgpr_workitem_id 0
		.amdhsa_next_free_vgpr 12
		.amdhsa_next_free_sgpr 31
		.amdhsa_named_barrier_count 0
		.amdhsa_reserve_vcc 1
		.amdhsa_float_round_mode_32 0
		.amdhsa_float_round_mode_16_64 0
		.amdhsa_float_denorm_mode_32 3
		.amdhsa_float_denorm_mode_16_64 3
		.amdhsa_fp16_overflow 0
		.amdhsa_memory_ordered 1
		.amdhsa_forward_progress 1
		.amdhsa_inst_pref_size 8
		.amdhsa_round_robin_scheduling 0
		.amdhsa_exception_fp_ieee_invalid_op 0
		.amdhsa_exception_fp_denorm_src 0
		.amdhsa_exception_fp_ieee_div_zero 0
		.amdhsa_exception_fp_ieee_overflow 0
		.amdhsa_exception_fp_ieee_underflow 0
		.amdhsa_exception_fp_ieee_inexact 0
		.amdhsa_exception_int_div_zero 0
	.end_amdhsa_kernel
	.section	.text._ZN9rocsparseL23check_matrix_ell_deviceILj256E21rocsparse_complex_numIdEiEEvT1_S3_S3_PKT0_PKS3_21rocsparse_index_base_22rocsparse_matrix_type_20rocsparse_fill_mode_23rocsparse_storage_mode_P22rocsparse_data_status_,"axG",@progbits,_ZN9rocsparseL23check_matrix_ell_deviceILj256E21rocsparse_complex_numIdEiEEvT1_S3_S3_PKT0_PKS3_21rocsparse_index_base_22rocsparse_matrix_type_20rocsparse_fill_mode_23rocsparse_storage_mode_P22rocsparse_data_status_,comdat
.Lfunc_end3:
	.size	_ZN9rocsparseL23check_matrix_ell_deviceILj256E21rocsparse_complex_numIdEiEEvT1_S3_S3_PKT0_PKS3_21rocsparse_index_base_22rocsparse_matrix_type_20rocsparse_fill_mode_23rocsparse_storage_mode_P22rocsparse_data_status_, .Lfunc_end3-_ZN9rocsparseL23check_matrix_ell_deviceILj256E21rocsparse_complex_numIdEiEEvT1_S3_S3_PKT0_PKS3_21rocsparse_index_base_22rocsparse_matrix_type_20rocsparse_fill_mode_23rocsparse_storage_mode_P22rocsparse_data_status_
                                        ; -- End function
	.set _ZN9rocsparseL23check_matrix_ell_deviceILj256E21rocsparse_complex_numIdEiEEvT1_S3_S3_PKT0_PKS3_21rocsparse_index_base_22rocsparse_matrix_type_20rocsparse_fill_mode_23rocsparse_storage_mode_P22rocsparse_data_status_.num_vgpr, 12
	.set _ZN9rocsparseL23check_matrix_ell_deviceILj256E21rocsparse_complex_numIdEiEEvT1_S3_S3_PKT0_PKS3_21rocsparse_index_base_22rocsparse_matrix_type_20rocsparse_fill_mode_23rocsparse_storage_mode_P22rocsparse_data_status_.num_agpr, 0
	.set _ZN9rocsparseL23check_matrix_ell_deviceILj256E21rocsparse_complex_numIdEiEEvT1_S3_S3_PKT0_PKS3_21rocsparse_index_base_22rocsparse_matrix_type_20rocsparse_fill_mode_23rocsparse_storage_mode_P22rocsparse_data_status_.numbered_sgpr, 31
	.set _ZN9rocsparseL23check_matrix_ell_deviceILj256E21rocsparse_complex_numIdEiEEvT1_S3_S3_PKT0_PKS3_21rocsparse_index_base_22rocsparse_matrix_type_20rocsparse_fill_mode_23rocsparse_storage_mode_P22rocsparse_data_status_.num_named_barrier, 0
	.set _ZN9rocsparseL23check_matrix_ell_deviceILj256E21rocsparse_complex_numIdEiEEvT1_S3_S3_PKT0_PKS3_21rocsparse_index_base_22rocsparse_matrix_type_20rocsparse_fill_mode_23rocsparse_storage_mode_P22rocsparse_data_status_.private_seg_size, 0
	.set _ZN9rocsparseL23check_matrix_ell_deviceILj256E21rocsparse_complex_numIdEiEEvT1_S3_S3_PKT0_PKS3_21rocsparse_index_base_22rocsparse_matrix_type_20rocsparse_fill_mode_23rocsparse_storage_mode_P22rocsparse_data_status_.uses_vcc, 1
	.set _ZN9rocsparseL23check_matrix_ell_deviceILj256E21rocsparse_complex_numIdEiEEvT1_S3_S3_PKT0_PKS3_21rocsparse_index_base_22rocsparse_matrix_type_20rocsparse_fill_mode_23rocsparse_storage_mode_P22rocsparse_data_status_.uses_flat_scratch, 0
	.set _ZN9rocsparseL23check_matrix_ell_deviceILj256E21rocsparse_complex_numIdEiEEvT1_S3_S3_PKT0_PKS3_21rocsparse_index_base_22rocsparse_matrix_type_20rocsparse_fill_mode_23rocsparse_storage_mode_P22rocsparse_data_status_.has_dyn_sized_stack, 0
	.set _ZN9rocsparseL23check_matrix_ell_deviceILj256E21rocsparse_complex_numIdEiEEvT1_S3_S3_PKT0_PKS3_21rocsparse_index_base_22rocsparse_matrix_type_20rocsparse_fill_mode_23rocsparse_storage_mode_P22rocsparse_data_status_.has_recursion, 0
	.set _ZN9rocsparseL23check_matrix_ell_deviceILj256E21rocsparse_complex_numIdEiEEvT1_S3_S3_PKT0_PKS3_21rocsparse_index_base_22rocsparse_matrix_type_20rocsparse_fill_mode_23rocsparse_storage_mode_P22rocsparse_data_status_.has_indirect_call, 0
	.section	.AMDGPU.csdata,"",@progbits
; Kernel info:
; codeLenInByte = 920
; TotalNumSgprs: 33
; NumVgprs: 12
; ScratchSize: 0
; MemoryBound: 0
; FloatMode: 240
; IeeeMode: 1
; LDSByteSize: 0 bytes/workgroup (compile time only)
; SGPRBlocks: 0
; VGPRBlocks: 0
; NumSGPRsForWavesPerEU: 33
; NumVGPRsForWavesPerEU: 12
; NamedBarCnt: 0
; Occupancy: 16
; WaveLimiterHint : 0
; COMPUTE_PGM_RSRC2:SCRATCH_EN: 0
; COMPUTE_PGM_RSRC2:USER_SGPR: 2
; COMPUTE_PGM_RSRC2:TRAP_HANDLER: 0
; COMPUTE_PGM_RSRC2:TGID_X_EN: 1
; COMPUTE_PGM_RSRC2:TGID_Y_EN: 0
; COMPUTE_PGM_RSRC2:TGID_Z_EN: 0
; COMPUTE_PGM_RSRC2:TIDIG_COMP_CNT: 0
	.section	.text._ZN9rocsparseL23check_matrix_ell_deviceILj256EflEEvT1_S1_S1_PKT0_PKS1_21rocsparse_index_base_22rocsparse_matrix_type_20rocsparse_fill_mode_23rocsparse_storage_mode_P22rocsparse_data_status_,"axG",@progbits,_ZN9rocsparseL23check_matrix_ell_deviceILj256EflEEvT1_S1_S1_PKT0_PKS1_21rocsparse_index_base_22rocsparse_matrix_type_20rocsparse_fill_mode_23rocsparse_storage_mode_P22rocsparse_data_status_,comdat
	.globl	_ZN9rocsparseL23check_matrix_ell_deviceILj256EflEEvT1_S1_S1_PKT0_PKS1_21rocsparse_index_base_22rocsparse_matrix_type_20rocsparse_fill_mode_23rocsparse_storage_mode_P22rocsparse_data_status_ ; -- Begin function _ZN9rocsparseL23check_matrix_ell_deviceILj256EflEEvT1_S1_S1_PKT0_PKS1_21rocsparse_index_base_22rocsparse_matrix_type_20rocsparse_fill_mode_23rocsparse_storage_mode_P22rocsparse_data_status_
	.p2align	8
	.type	_ZN9rocsparseL23check_matrix_ell_deviceILj256EflEEvT1_S1_S1_PKT0_PKS1_21rocsparse_index_base_22rocsparse_matrix_type_20rocsparse_fill_mode_23rocsparse_storage_mode_P22rocsparse_data_status_,@function
_ZN9rocsparseL23check_matrix_ell_deviceILj256EflEEvT1_S1_S1_PKT0_PKS1_21rocsparse_index_base_22rocsparse_matrix_type_20rocsparse_fill_mode_23rocsparse_storage_mode_P22rocsparse_data_status_: ; @_ZN9rocsparseL23check_matrix_ell_deviceILj256EflEEvT1_S1_S1_PKT0_PKS1_21rocsparse_index_base_22rocsparse_matrix_type_20rocsparse_fill_mode_23rocsparse_storage_mode_P22rocsparse_data_status_
; %bb.0:
	s_load_b128 s[4:7], s[0:1], 0x0
	s_bfe_u32 s2, ttmp6, 0x4000c
	s_and_b32 s3, ttmp6, 15
	s_add_co_i32 s2, s2, 1
	s_getreg_b32 s8, hwreg(HW_REG_IB_STS2, 6, 4)
	s_mul_i32 s2, ttmp9, s2
	v_mov_b32_e32 v1, 0
	s_add_co_i32 s3, s3, s2
	s_cmp_eq_u32 s8, 0
	s_cselect_b32 s2, ttmp9, s3
	s_delay_alu instid0(SALU_CYCLE_1) | instskip(SKIP_2) | instid1(VALU_DEP_1)
	v_lshl_or_b32 v0, s2, 8, v0
	s_mov_b32 s2, exec_lo
	s_wait_kmcnt 0x0
	v_cmpx_gt_i64_e64 s[4:5], v[0:1]
	s_cbranch_execz .LBB4_28
; %bb.1:
	s_load_b64 s[12:13], s[0:1], 0x10
	s_wait_kmcnt 0x0
	v_cmp_lt_i64_e64 s2, s[12:13], 1
	s_and_b32 vcc_lo, exec_lo, s2
	s_cbranch_vccnz .LBB4_28
; %bb.2:
	s_load_b64 s[2:3], s[0:1], 0x20
	s_wait_kmcnt 0x0
	v_lshl_add_u64 v[4:5], v[0:1], 3, s[2:3]
	global_load_b64 v[2:3], v[4:5], off
	s_wait_loadcnt 0x0
	v_cmp_ne_u64_e32 vcc_lo, -1, v[2:3]
	s_and_b32 exec_lo, exec_lo, vcc_lo
	s_cbranch_execz .LBB4_28
; %bb.3:
	s_load_b32 s8, s[0:1], 0x28
	s_mov_b32 s9, 0
	v_mov_b32_e32 v8, 4
	s_wait_kmcnt 0x0
	v_sub_nc_u64_e64 v[2:3], v[2:3], s[8:9]
	s_delay_alu instid0(VALU_DEP_1) | instskip(SKIP_2) | instid1(SALU_CYCLE_1)
	v_cmp_lt_i64_e32 vcc_lo, -1, v[2:3]
	v_cmp_gt_i64_e64 s2, s[6:7], v[2:3]
	s_and_b32 s2, vcc_lo, s2
	s_xor_b32 s16, s2, -1
	s_and_saveexec_b32 s17, s2
	s_cbranch_execz .LBB4_26
; %bb.4:
	s_load_b64 s[14:15], s[0:1], 0x18
	v_mov_b32_e32 v8, 1
	s_mov_b32 s18, exec_lo
	s_wait_kmcnt 0x0
	v_lshl_add_u64 v[2:3], v[0:1], 2, s[14:15]
	global_load_b32 v2, v[2:3], off
	s_wait_loadcnt 0x0
	v_cmp_eq_f32_e64 s2, 0x7f800000, v2
	v_cmpx_neq_f32_e32 0x7f800000, v2
	s_cbranch_execz .LBB4_25
; %bb.5:
	v_mov_b32_e32 v8, 2
	s_mov_b32 s3, -1
	s_mov_b32 s19, exec_lo
	v_cmpx_o_f32_e32 v2, v2
	s_cbranch_execz .LBB4_24
; %bb.6:
	s_cmp_lg_u64 s[12:13], 1
	s_cbranch_scc0 .LBB4_21
; %bb.7:
	s_load_b32 s3, s[0:1], 0x34
	s_add_nc_u64 s[12:13], s[12:13], -1
                                        ; implicit-def: $sgpr22
                                        ; implicit-def: $sgpr23
	s_wait_kmcnt 0x0
	s_cmp_eq_u32 s3, 0
	s_cselect_b32 s20, -1, 0
	s_cmp_lg_u32 s3, 0
	s_cselect_b32 s21, -1, 0
	s_lshl_b64 s[10:11], s[4:5], 2
	s_lshl_b64 s[4:5], s[4:5], 3
	s_add_nc_u64 s[14:15], s[14:15], s[10:11]
	s_delay_alu instid0(SALU_CYCLE_1)
	v_lshl_add_u64 v[0:1], v[0:1], 2, s[14:15]
	s_mov_b32 s15, 0
                                        ; implicit-def: $sgpr14
	s_branch .LBB4_13
.LBB4_8:                                ;   in Loop: Header=BB4_13 Depth=1
	s_or_b32 exec_lo, exec_lo, s30
	v_mov_b32_e32 v8, s27
	s_and_b32 s28, s28, exec_lo
	s_or_not1_b32 s27, s29, exec_lo
.LBB4_9:                                ;   in Loop: Header=BB4_13 Depth=1
	s_or_b32 exec_lo, exec_lo, s26
	s_delay_alu instid0(SALU_CYCLE_1)
	s_and_b32 s26, s28, exec_lo
	s_or_not1_b32 s27, s27, exec_lo
.LBB4_10:                               ;   in Loop: Header=BB4_13 Depth=1
	s_or_b32 exec_lo, exec_lo, s25
	s_delay_alu instid0(SALU_CYCLE_1)
	s_and_b32 s26, s26, exec_lo
	s_or_not1_b32 s25, s27, exec_lo
.LBB4_11:                               ;   in Loop: Header=BB4_13 Depth=1
	s_or_b32 exec_lo, exec_lo, s3
	s_delay_alu instid0(SALU_CYCLE_1)
	s_and_not1_b32 s3, s23, exec_lo
	s_and_b32 s23, s26, exec_lo
	s_and_not1_b32 s22, s22, exec_lo
	s_and_b32 s25, s25, exec_lo
	s_or_b32 s23, s3, s23
	s_or_b32 s22, s22, s25
.LBB4_12:                               ;   in Loop: Header=BB4_13 Depth=1
	s_or_b32 exec_lo, exec_lo, s24
	s_xor_b32 s3, s23, -1
	s_and_b32 s24, exec_lo, s22
	v_mov_b64_e32 v[4:5], v[2:3]
	s_or_b32 s15, s24, s15
	s_and_not1_b32 s14, s14, exec_lo
	s_and_b32 s3, s3, exec_lo
	s_delay_alu instid0(SALU_CYCLE_1)
	s_or_b32 s14, s14, s3
	s_and_not1_b32 exec_lo, exec_lo, s15
	s_cbranch_execz .LBB4_22
.LBB4_13:                               ; =>This Inner Loop Header: Depth=1
	v_add_nc_u64_e32 v[2:3], s[4:5], v[4:5]
	s_or_b32 s23, s23, exec_lo
	s_or_b32 s22, s22, exec_lo
	s_mov_b32 s24, exec_lo
                                        ; implicit-def: $vgpr8
	global_load_b64 v[6:7], v[2:3], off
	s_wait_loadcnt 0x0
	v_cmpx_ne_u64_e32 -1, v[6:7]
	s_cbranch_execz .LBB4_12
; %bb.14:                               ;   in Loop: Header=BB4_13 Depth=1
	v_sub_nc_u64_e64 v[8:9], v[6:7], s[8:9]
	s_mov_b32 s25, -1
	s_mov_b32 s26, 0
	s_delay_alu instid0(VALU_DEP_1) | instskip(SKIP_3) | instid1(SALU_CYCLE_1)
	v_cmp_lt_i64_e32 vcc_lo, -1, v[8:9]
	v_cmp_gt_i64_e64 s3, s[6:7], v[8:9]
	v_mov_b32_e32 v8, 4
	s_and_b32 s27, vcc_lo, s3
	s_and_saveexec_b32 s3, s27
	s_cbranch_execz .LBB4_11
; %bb.15:                               ;   in Loop: Header=BB4_13 Depth=1
	global_load_b32 v9, v[0:1], off
	v_mov_b32_e32 v8, 1
	s_mov_b32 s27, -1
	s_mov_b32 s25, exec_lo
	s_wait_loadcnt 0x0
	v_cmpx_neq_f32_e32 0x7f800000, v9
	s_cbranch_execz .LBB4_10
; %bb.16:                               ;   in Loop: Header=BB4_13 Depth=1
	v_mov_b32_e32 v8, 2
	s_mov_b32 s28, 0
	s_mov_b32 s26, exec_lo
	v_cmpx_o_f32_e32 v9, v9
	s_cbranch_execz .LBB4_9
; %bb.17:                               ;   in Loop: Header=BB4_13 Depth=1
	s_mov_b32 s27, 2
	s_and_b32 vcc_lo, exec_lo, s20
	s_mov_b32 s31, s21
	s_cbranch_vccz .LBB4_19
; %bb.18:                               ;   in Loop: Header=BB4_13 Depth=1
	global_load_b64 v[4:5], v[4:5], off
	s_and_not1_b32 s28, s21, exec_lo
	s_mov_b32 s27, 6
	s_wait_loadcnt 0x0
	v_cmp_lt_i64_e32 vcc_lo, v[4:5], v[6:7]
	s_and_b32 s29, vcc_lo, exec_lo
	s_delay_alu instid0(SALU_CYCLE_1)
	s_or_b32 s31, s28, s29
.LBB4_19:                               ;   in Loop: Header=BB4_13 Depth=1
	s_mov_b32 s29, -1
	s_mov_b32 s28, 0
	s_and_saveexec_b32 s30, s31
	s_cbranch_execz .LBB4_8
; %bb.20:                               ;   in Loop: Header=BB4_13 Depth=1
	s_add_nc_u64 s[12:13], s[12:13], -1
	v_add_nc_u64_e32 v[0:1], s[10:11], v[0:1]
	s_cmp_eq_u64 s[12:13], 0
	s_mov_b32 s28, exec_lo
	s_cselect_b32 s29, -1, 0
	s_delay_alu instid0(SALU_CYCLE_1)
	s_or_not1_b32 s29, s29, exec_lo
	s_branch .LBB4_8
.LBB4_21:
	v_mov_b32_e32 v8, 2
	s_mov_b32 s14, 0
	s_branch .LBB4_23
.LBB4_22:
	s_or_b32 exec_lo, exec_lo, s15
.LBB4_23:
	s_delay_alu instid0(SALU_CYCLE_1)
	s_or_not1_b32 s3, s14, exec_lo
.LBB4_24:
	s_or_b32 exec_lo, exec_lo, s19
	s_delay_alu instid0(SALU_CYCLE_1) | instskip(SKIP_1) | instid1(SALU_CYCLE_1)
	s_and_not1_b32 s2, s2, exec_lo
	s_and_b32 s3, s3, exec_lo
	s_or_b32 s2, s2, s3
.LBB4_25:
	s_or_b32 exec_lo, exec_lo, s18
	s_delay_alu instid0(SALU_CYCLE_1) | instskip(SKIP_1) | instid1(SALU_CYCLE_1)
	s_and_not1_b32 s3, s16, exec_lo
	s_and_b32 s2, s2, exec_lo
	s_or_b32 s16, s3, s2
.LBB4_26:
	s_or_b32 exec_lo, exec_lo, s17
	s_delay_alu instid0(SALU_CYCLE_1)
	s_and_b32 exec_lo, exec_lo, s16
	s_cbranch_execz .LBB4_28
; %bb.27:
	s_load_b64 s[0:1], s[0:1], 0x38
	v_mov_b32_e32 v0, 0
	s_wait_kmcnt 0x0
	global_store_b32 v0, v8, s[0:1]
.LBB4_28:
	s_endpgm
	.section	.rodata,"a",@progbits
	.p2align	6, 0x0
	.amdhsa_kernel _ZN9rocsparseL23check_matrix_ell_deviceILj256EflEEvT1_S1_S1_PKT0_PKS1_21rocsparse_index_base_22rocsparse_matrix_type_20rocsparse_fill_mode_23rocsparse_storage_mode_P22rocsparse_data_status_
		.amdhsa_group_segment_fixed_size 0
		.amdhsa_private_segment_fixed_size 0
		.amdhsa_kernarg_size 64
		.amdhsa_user_sgpr_count 2
		.amdhsa_user_sgpr_dispatch_ptr 0
		.amdhsa_user_sgpr_queue_ptr 0
		.amdhsa_user_sgpr_kernarg_segment_ptr 1
		.amdhsa_user_sgpr_dispatch_id 0
		.amdhsa_user_sgpr_kernarg_preload_length 0
		.amdhsa_user_sgpr_kernarg_preload_offset 0
		.amdhsa_user_sgpr_private_segment_size 0
		.amdhsa_wavefront_size32 1
		.amdhsa_uses_dynamic_stack 0
		.amdhsa_enable_private_segment 0
		.amdhsa_system_sgpr_workgroup_id_x 1
		.amdhsa_system_sgpr_workgroup_id_y 0
		.amdhsa_system_sgpr_workgroup_id_z 0
		.amdhsa_system_sgpr_workgroup_info 0
		.amdhsa_system_vgpr_workitem_id 0
		.amdhsa_next_free_vgpr 10
		.amdhsa_next_free_sgpr 32
		.amdhsa_named_barrier_count 0
		.amdhsa_reserve_vcc 1
		.amdhsa_float_round_mode_32 0
		.amdhsa_float_round_mode_16_64 0
		.amdhsa_float_denorm_mode_32 3
		.amdhsa_float_denorm_mode_16_64 3
		.amdhsa_fp16_overflow 0
		.amdhsa_memory_ordered 1
		.amdhsa_forward_progress 1
		.amdhsa_inst_pref_size 7
		.amdhsa_round_robin_scheduling 0
		.amdhsa_exception_fp_ieee_invalid_op 0
		.amdhsa_exception_fp_denorm_src 0
		.amdhsa_exception_fp_ieee_div_zero 0
		.amdhsa_exception_fp_ieee_overflow 0
		.amdhsa_exception_fp_ieee_underflow 0
		.amdhsa_exception_fp_ieee_inexact 0
		.amdhsa_exception_int_div_zero 0
	.end_amdhsa_kernel
	.section	.text._ZN9rocsparseL23check_matrix_ell_deviceILj256EflEEvT1_S1_S1_PKT0_PKS1_21rocsparse_index_base_22rocsparse_matrix_type_20rocsparse_fill_mode_23rocsparse_storage_mode_P22rocsparse_data_status_,"axG",@progbits,_ZN9rocsparseL23check_matrix_ell_deviceILj256EflEEvT1_S1_S1_PKT0_PKS1_21rocsparse_index_base_22rocsparse_matrix_type_20rocsparse_fill_mode_23rocsparse_storage_mode_P22rocsparse_data_status_,comdat
.Lfunc_end4:
	.size	_ZN9rocsparseL23check_matrix_ell_deviceILj256EflEEvT1_S1_S1_PKT0_PKS1_21rocsparse_index_base_22rocsparse_matrix_type_20rocsparse_fill_mode_23rocsparse_storage_mode_P22rocsparse_data_status_, .Lfunc_end4-_ZN9rocsparseL23check_matrix_ell_deviceILj256EflEEvT1_S1_S1_PKT0_PKS1_21rocsparse_index_base_22rocsparse_matrix_type_20rocsparse_fill_mode_23rocsparse_storage_mode_P22rocsparse_data_status_
                                        ; -- End function
	.set _ZN9rocsparseL23check_matrix_ell_deviceILj256EflEEvT1_S1_S1_PKT0_PKS1_21rocsparse_index_base_22rocsparse_matrix_type_20rocsparse_fill_mode_23rocsparse_storage_mode_P22rocsparse_data_status_.num_vgpr, 10
	.set _ZN9rocsparseL23check_matrix_ell_deviceILj256EflEEvT1_S1_S1_PKT0_PKS1_21rocsparse_index_base_22rocsparse_matrix_type_20rocsparse_fill_mode_23rocsparse_storage_mode_P22rocsparse_data_status_.num_agpr, 0
	.set _ZN9rocsparseL23check_matrix_ell_deviceILj256EflEEvT1_S1_S1_PKT0_PKS1_21rocsparse_index_base_22rocsparse_matrix_type_20rocsparse_fill_mode_23rocsparse_storage_mode_P22rocsparse_data_status_.numbered_sgpr, 32
	.set _ZN9rocsparseL23check_matrix_ell_deviceILj256EflEEvT1_S1_S1_PKT0_PKS1_21rocsparse_index_base_22rocsparse_matrix_type_20rocsparse_fill_mode_23rocsparse_storage_mode_P22rocsparse_data_status_.num_named_barrier, 0
	.set _ZN9rocsparseL23check_matrix_ell_deviceILj256EflEEvT1_S1_S1_PKT0_PKS1_21rocsparse_index_base_22rocsparse_matrix_type_20rocsparse_fill_mode_23rocsparse_storage_mode_P22rocsparse_data_status_.private_seg_size, 0
	.set _ZN9rocsparseL23check_matrix_ell_deviceILj256EflEEvT1_S1_S1_PKT0_PKS1_21rocsparse_index_base_22rocsparse_matrix_type_20rocsparse_fill_mode_23rocsparse_storage_mode_P22rocsparse_data_status_.uses_vcc, 1
	.set _ZN9rocsparseL23check_matrix_ell_deviceILj256EflEEvT1_S1_S1_PKT0_PKS1_21rocsparse_index_base_22rocsparse_matrix_type_20rocsparse_fill_mode_23rocsparse_storage_mode_P22rocsparse_data_status_.uses_flat_scratch, 0
	.set _ZN9rocsparseL23check_matrix_ell_deviceILj256EflEEvT1_S1_S1_PKT0_PKS1_21rocsparse_index_base_22rocsparse_matrix_type_20rocsparse_fill_mode_23rocsparse_storage_mode_P22rocsparse_data_status_.has_dyn_sized_stack, 0
	.set _ZN9rocsparseL23check_matrix_ell_deviceILj256EflEEvT1_S1_S1_PKT0_PKS1_21rocsparse_index_base_22rocsparse_matrix_type_20rocsparse_fill_mode_23rocsparse_storage_mode_P22rocsparse_data_status_.has_recursion, 0
	.set _ZN9rocsparseL23check_matrix_ell_deviceILj256EflEEvT1_S1_S1_PKT0_PKS1_21rocsparse_index_base_22rocsparse_matrix_type_20rocsparse_fill_mode_23rocsparse_storage_mode_P22rocsparse_data_status_.has_indirect_call, 0
	.section	.AMDGPU.csdata,"",@progbits
; Kernel info:
; codeLenInByte = 864
; TotalNumSgprs: 34
; NumVgprs: 10
; ScratchSize: 0
; MemoryBound: 1
; FloatMode: 240
; IeeeMode: 1
; LDSByteSize: 0 bytes/workgroup (compile time only)
; SGPRBlocks: 0
; VGPRBlocks: 0
; NumSGPRsForWavesPerEU: 34
; NumVGPRsForWavesPerEU: 10
; NamedBarCnt: 0
; Occupancy: 16
; WaveLimiterHint : 0
; COMPUTE_PGM_RSRC2:SCRATCH_EN: 0
; COMPUTE_PGM_RSRC2:USER_SGPR: 2
; COMPUTE_PGM_RSRC2:TRAP_HANDLER: 0
; COMPUTE_PGM_RSRC2:TGID_X_EN: 1
; COMPUTE_PGM_RSRC2:TGID_Y_EN: 0
; COMPUTE_PGM_RSRC2:TGID_Z_EN: 0
; COMPUTE_PGM_RSRC2:TIDIG_COMP_CNT: 0
	.section	.text._ZN9rocsparseL23check_matrix_ell_deviceILj256EdlEEvT1_S1_S1_PKT0_PKS1_21rocsparse_index_base_22rocsparse_matrix_type_20rocsparse_fill_mode_23rocsparse_storage_mode_P22rocsparse_data_status_,"axG",@progbits,_ZN9rocsparseL23check_matrix_ell_deviceILj256EdlEEvT1_S1_S1_PKT0_PKS1_21rocsparse_index_base_22rocsparse_matrix_type_20rocsparse_fill_mode_23rocsparse_storage_mode_P22rocsparse_data_status_,comdat
	.globl	_ZN9rocsparseL23check_matrix_ell_deviceILj256EdlEEvT1_S1_S1_PKT0_PKS1_21rocsparse_index_base_22rocsparse_matrix_type_20rocsparse_fill_mode_23rocsparse_storage_mode_P22rocsparse_data_status_ ; -- Begin function _ZN9rocsparseL23check_matrix_ell_deviceILj256EdlEEvT1_S1_S1_PKT0_PKS1_21rocsparse_index_base_22rocsparse_matrix_type_20rocsparse_fill_mode_23rocsparse_storage_mode_P22rocsparse_data_status_
	.p2align	8
	.type	_ZN9rocsparseL23check_matrix_ell_deviceILj256EdlEEvT1_S1_S1_PKT0_PKS1_21rocsparse_index_base_22rocsparse_matrix_type_20rocsparse_fill_mode_23rocsparse_storage_mode_P22rocsparse_data_status_,@function
_ZN9rocsparseL23check_matrix_ell_deviceILj256EdlEEvT1_S1_S1_PKT0_PKS1_21rocsparse_index_base_22rocsparse_matrix_type_20rocsparse_fill_mode_23rocsparse_storage_mode_P22rocsparse_data_status_: ; @_ZN9rocsparseL23check_matrix_ell_deviceILj256EdlEEvT1_S1_S1_PKT0_PKS1_21rocsparse_index_base_22rocsparse_matrix_type_20rocsparse_fill_mode_23rocsparse_storage_mode_P22rocsparse_data_status_
; %bb.0:
	s_load_b128 s[4:7], s[0:1], 0x0
	s_bfe_u32 s2, ttmp6, 0x4000c
	s_and_b32 s3, ttmp6, 15
	s_add_co_i32 s2, s2, 1
	s_getreg_b32 s8, hwreg(HW_REG_IB_STS2, 6, 4)
	s_mul_i32 s2, ttmp9, s2
	v_mov_b32_e32 v1, 0
	s_add_co_i32 s3, s3, s2
	s_cmp_eq_u32 s8, 0
	s_cselect_b32 s2, ttmp9, s3
	s_delay_alu instid0(SALU_CYCLE_1) | instskip(SKIP_2) | instid1(VALU_DEP_1)
	v_lshl_or_b32 v0, s2, 8, v0
	s_mov_b32 s2, exec_lo
	s_wait_kmcnt 0x0
	v_cmpx_gt_i64_e64 s[4:5], v[0:1]
	s_cbranch_execz .LBB5_28
; %bb.1:
	s_load_b64 s[10:11], s[0:1], 0x10
	s_wait_kmcnt 0x0
	v_cmp_lt_i64_e64 s2, s[10:11], 1
	s_and_b32 vcc_lo, exec_lo, s2
	s_cbranch_vccnz .LBB5_28
; %bb.2:
	s_load_b64 s[2:3], s[0:1], 0x20
	s_wait_kmcnt 0x0
	v_lshl_add_u64 v[4:5], v[0:1], 3, s[2:3]
	global_load_b64 v[2:3], v[4:5], off
	s_wait_loadcnt 0x0
	v_cmp_ne_u64_e32 vcc_lo, -1, v[2:3]
	s_and_b32 exec_lo, exec_lo, vcc_lo
	s_cbranch_execz .LBB5_28
; %bb.3:
	s_load_b32 s8, s[0:1], 0x28
	s_mov_b32 s9, 0
	v_mov_b32_e32 v10, 4
	s_wait_kmcnt 0x0
	v_sub_nc_u64_e64 v[2:3], v[2:3], s[8:9]
	s_delay_alu instid0(VALU_DEP_1) | instskip(SKIP_2) | instid1(SALU_CYCLE_1)
	v_cmp_lt_i64_e32 vcc_lo, -1, v[2:3]
	v_cmp_gt_i64_e64 s2, s[6:7], v[2:3]
	s_and_b32 s2, vcc_lo, s2
	s_xor_b32 s12, s2, -1
	s_and_saveexec_b32 s13, s2
	s_cbranch_execz .LBB5_26
; %bb.4:
	s_load_b64 s[2:3], s[0:1], 0x18
	v_mov_b32_e32 v10, 1
	s_mov_b32 s14, exec_lo
	s_wait_kmcnt 0x0
	v_lshl_add_u64 v[0:1], v[0:1], 3, s[2:3]
	global_load_b64 v[2:3], v[0:1], off
	s_wait_loadcnt 0x0
	v_cmp_eq_f64_e64 s2, 0x7ff00000, v[2:3]
	v_cmpx_neq_f64_e32 0x7ff00000, v[2:3]
	s_cbranch_execz .LBB5_25
; %bb.5:
	v_mov_b32_e32 v10, 2
	s_mov_b32 s3, -1
	s_mov_b32 s15, exec_lo
	v_cmpx_o_f64_e32 v[2:3], v[2:3]
	s_cbranch_execz .LBB5_24
; %bb.6:
	s_cmp_lg_u64 s[10:11], 1
	s_cbranch_scc0 .LBB5_21
; %bb.7:
	s_load_b32 s3, s[0:1], 0x34
	s_mov_b32 s16, 0
	s_add_nc_u64 s[10:11], s[10:11], -1
                                        ; implicit-def: $sgpr17
                                        ; implicit-def: $sgpr20
                                        ; implicit-def: $sgpr21
	s_wait_kmcnt 0x0
	s_cmp_eq_u32 s3, 0
	s_cselect_b32 s18, -1, 0
	s_cmp_lg_u32 s3, 0
	s_cselect_b32 s19, -1, 0
	s_lshl_b64 s[4:5], s[4:5], 3
	s_branch .LBB5_13
.LBB5_8:                                ;   in Loop: Header=BB5_13 Depth=1
	s_or_b32 exec_lo, exec_lo, s28
	v_mov_b32_e32 v10, s25
	s_and_b32 s26, s26, exec_lo
	s_or_not1_b32 s25, s27, exec_lo
.LBB5_9:                                ;   in Loop: Header=BB5_13 Depth=1
	s_or_b32 exec_lo, exec_lo, s24
	s_delay_alu instid0(SALU_CYCLE_1)
	s_and_b32 s24, s26, exec_lo
	s_or_not1_b32 s25, s25, exec_lo
.LBB5_10:                               ;   in Loop: Header=BB5_13 Depth=1
	s_or_b32 exec_lo, exec_lo, s23
	s_delay_alu instid0(SALU_CYCLE_1)
	s_and_b32 s24, s24, exec_lo
	s_or_not1_b32 s23, s25, exec_lo
.LBB5_11:                               ;   in Loop: Header=BB5_13 Depth=1
	s_or_b32 exec_lo, exec_lo, s3
	s_delay_alu instid0(SALU_CYCLE_1)
	s_and_not1_b32 s3, s21, exec_lo
	s_and_b32 s21, s24, exec_lo
	s_and_not1_b32 s20, s20, exec_lo
	s_and_b32 s23, s23, exec_lo
	s_or_b32 s21, s3, s21
	s_or_b32 s20, s20, s23
.LBB5_12:                               ;   in Loop: Header=BB5_13 Depth=1
	s_or_b32 exec_lo, exec_lo, s22
	s_xor_b32 s3, s21, -1
	s_and_b32 s22, exec_lo, s20
	v_mov_b64_e32 v[4:5], v[2:3]
	s_or_b32 s16, s22, s16
	s_and_not1_b32 s17, s17, exec_lo
	s_and_b32 s3, s3, exec_lo
	s_delay_alu instid0(SALU_CYCLE_1)
	s_or_b32 s17, s17, s3
	s_and_not1_b32 exec_lo, exec_lo, s16
	s_cbranch_execz .LBB5_22
.LBB5_13:                               ; =>This Inner Loop Header: Depth=1
	v_add_nc_u64_e32 v[2:3], s[4:5], v[4:5]
	s_or_b32 s21, s21, exec_lo
	s_or_b32 s20, s20, exec_lo
	s_mov_b32 s22, exec_lo
                                        ; implicit-def: $vgpr10
	global_load_b64 v[6:7], v[2:3], off
	s_wait_loadcnt 0x0
	v_cmpx_ne_u64_e32 -1, v[6:7]
	s_cbranch_execz .LBB5_12
; %bb.14:                               ;   in Loop: Header=BB5_13 Depth=1
	v_sub_nc_u64_e64 v[8:9], v[6:7], s[8:9]
	v_mov_b32_e32 v10, 4
	s_mov_b32 s23, -1
	s_mov_b32 s24, 0
	s_delay_alu instid0(VALU_DEP_2) | instskip(SKIP_2) | instid1(SALU_CYCLE_1)
	v_cmp_lt_i64_e32 vcc_lo, -1, v[8:9]
	v_cmp_gt_i64_e64 s3, s[6:7], v[8:9]
	s_and_b32 s25, vcc_lo, s3
	s_and_saveexec_b32 s3, s25
	s_cbranch_execz .LBB5_11
; %bb.15:                               ;   in Loop: Header=BB5_13 Depth=1
	v_add_nc_u64_e32 v[0:1], s[4:5], v[0:1]
	v_mov_b32_e32 v10, 1
	s_mov_b32 s25, -1
	s_mov_b32 s23, exec_lo
	global_load_b64 v[8:9], v[0:1], off
	s_wait_loadcnt 0x0
	v_cmpx_neq_f64_e32 0x7ff00000, v[8:9]
	s_cbranch_execz .LBB5_10
; %bb.16:                               ;   in Loop: Header=BB5_13 Depth=1
	v_mov_b32_e32 v10, 2
	s_mov_b32 s26, 0
	s_mov_b32 s24, exec_lo
	v_cmpx_o_f64_e32 v[8:9], v[8:9]
	s_cbranch_execz .LBB5_9
; %bb.17:                               ;   in Loop: Header=BB5_13 Depth=1
	s_mov_b32 s25, 2
	s_and_b32 vcc_lo, exec_lo, s18
	s_mov_b32 s29, s19
	s_cbranch_vccz .LBB5_19
; %bb.18:                               ;   in Loop: Header=BB5_13 Depth=1
	global_load_b64 v[4:5], v[4:5], off
	s_and_not1_b32 s26, s19, exec_lo
	s_mov_b32 s25, 6
	s_wait_loadcnt 0x0
	v_cmp_lt_i64_e32 vcc_lo, v[4:5], v[6:7]
	s_and_b32 s27, vcc_lo, exec_lo
	s_delay_alu instid0(SALU_CYCLE_1)
	s_or_b32 s29, s26, s27
.LBB5_19:                               ;   in Loop: Header=BB5_13 Depth=1
	s_mov_b32 s27, -1
	s_mov_b32 s26, 0
	s_and_saveexec_b32 s28, s29
	s_cbranch_execz .LBB5_8
; %bb.20:                               ;   in Loop: Header=BB5_13 Depth=1
	s_add_nc_u64 s[10:11], s[10:11], -1
	s_mov_b32 s26, exec_lo
	s_cmp_eq_u64 s[10:11], 0
	s_cselect_b32 s27, -1, 0
	s_delay_alu instid0(SALU_CYCLE_1)
	s_or_not1_b32 s27, s27, exec_lo
	s_branch .LBB5_8
.LBB5_21:
	v_mov_b32_e32 v10, 2
	s_mov_b32 s17, 0
	s_branch .LBB5_23
.LBB5_22:
	s_or_b32 exec_lo, exec_lo, s16
.LBB5_23:
	s_delay_alu instid0(SALU_CYCLE_1)
	s_or_not1_b32 s3, s17, exec_lo
.LBB5_24:
	s_or_b32 exec_lo, exec_lo, s15
	s_delay_alu instid0(SALU_CYCLE_1) | instskip(SKIP_1) | instid1(SALU_CYCLE_1)
	s_and_not1_b32 s2, s2, exec_lo
	s_and_b32 s3, s3, exec_lo
	s_or_b32 s2, s2, s3
.LBB5_25:
	s_or_b32 exec_lo, exec_lo, s14
	s_delay_alu instid0(SALU_CYCLE_1) | instskip(SKIP_1) | instid1(SALU_CYCLE_1)
	s_and_not1_b32 s3, s12, exec_lo
	s_and_b32 s2, s2, exec_lo
	s_or_b32 s12, s3, s2
.LBB5_26:
	s_or_b32 exec_lo, exec_lo, s13
	s_delay_alu instid0(SALU_CYCLE_1)
	s_and_b32 exec_lo, exec_lo, s12
	s_cbranch_execz .LBB5_28
; %bb.27:
	s_load_b64 s[0:1], s[0:1], 0x38
	v_mov_b32_e32 v0, 0
	s_wait_kmcnt 0x0
	global_store_b32 v0, v10, s[0:1]
.LBB5_28:
	s_endpgm
	.section	.rodata,"a",@progbits
	.p2align	6, 0x0
	.amdhsa_kernel _ZN9rocsparseL23check_matrix_ell_deviceILj256EdlEEvT1_S1_S1_PKT0_PKS1_21rocsparse_index_base_22rocsparse_matrix_type_20rocsparse_fill_mode_23rocsparse_storage_mode_P22rocsparse_data_status_
		.amdhsa_group_segment_fixed_size 0
		.amdhsa_private_segment_fixed_size 0
		.amdhsa_kernarg_size 64
		.amdhsa_user_sgpr_count 2
		.amdhsa_user_sgpr_dispatch_ptr 0
		.amdhsa_user_sgpr_queue_ptr 0
		.amdhsa_user_sgpr_kernarg_segment_ptr 1
		.amdhsa_user_sgpr_dispatch_id 0
		.amdhsa_user_sgpr_kernarg_preload_length 0
		.amdhsa_user_sgpr_kernarg_preload_offset 0
		.amdhsa_user_sgpr_private_segment_size 0
		.amdhsa_wavefront_size32 1
		.amdhsa_uses_dynamic_stack 0
		.amdhsa_enable_private_segment 0
		.amdhsa_system_sgpr_workgroup_id_x 1
		.amdhsa_system_sgpr_workgroup_id_y 0
		.amdhsa_system_sgpr_workgroup_id_z 0
		.amdhsa_system_sgpr_workgroup_info 0
		.amdhsa_system_vgpr_workitem_id 0
		.amdhsa_next_free_vgpr 11
		.amdhsa_next_free_sgpr 30
		.amdhsa_named_barrier_count 0
		.amdhsa_reserve_vcc 1
		.amdhsa_float_round_mode_32 0
		.amdhsa_float_round_mode_16_64 0
		.amdhsa_float_denorm_mode_32 3
		.amdhsa_float_denorm_mode_16_64 3
		.amdhsa_fp16_overflow 0
		.amdhsa_memory_ordered 1
		.amdhsa_forward_progress 1
		.amdhsa_inst_pref_size 7
		.amdhsa_round_robin_scheduling 0
		.amdhsa_exception_fp_ieee_invalid_op 0
		.amdhsa_exception_fp_denorm_src 0
		.amdhsa_exception_fp_ieee_div_zero 0
		.amdhsa_exception_fp_ieee_overflow 0
		.amdhsa_exception_fp_ieee_underflow 0
		.amdhsa_exception_fp_ieee_inexact 0
		.amdhsa_exception_int_div_zero 0
	.end_amdhsa_kernel
	.section	.text._ZN9rocsparseL23check_matrix_ell_deviceILj256EdlEEvT1_S1_S1_PKT0_PKS1_21rocsparse_index_base_22rocsparse_matrix_type_20rocsparse_fill_mode_23rocsparse_storage_mode_P22rocsparse_data_status_,"axG",@progbits,_ZN9rocsparseL23check_matrix_ell_deviceILj256EdlEEvT1_S1_S1_PKT0_PKS1_21rocsparse_index_base_22rocsparse_matrix_type_20rocsparse_fill_mode_23rocsparse_storage_mode_P22rocsparse_data_status_,comdat
.Lfunc_end5:
	.size	_ZN9rocsparseL23check_matrix_ell_deviceILj256EdlEEvT1_S1_S1_PKT0_PKS1_21rocsparse_index_base_22rocsparse_matrix_type_20rocsparse_fill_mode_23rocsparse_storage_mode_P22rocsparse_data_status_, .Lfunc_end5-_ZN9rocsparseL23check_matrix_ell_deviceILj256EdlEEvT1_S1_S1_PKT0_PKS1_21rocsparse_index_base_22rocsparse_matrix_type_20rocsparse_fill_mode_23rocsparse_storage_mode_P22rocsparse_data_status_
                                        ; -- End function
	.set _ZN9rocsparseL23check_matrix_ell_deviceILj256EdlEEvT1_S1_S1_PKT0_PKS1_21rocsparse_index_base_22rocsparse_matrix_type_20rocsparse_fill_mode_23rocsparse_storage_mode_P22rocsparse_data_status_.num_vgpr, 11
	.set _ZN9rocsparseL23check_matrix_ell_deviceILj256EdlEEvT1_S1_S1_PKT0_PKS1_21rocsparse_index_base_22rocsparse_matrix_type_20rocsparse_fill_mode_23rocsparse_storage_mode_P22rocsparse_data_status_.num_agpr, 0
	.set _ZN9rocsparseL23check_matrix_ell_deviceILj256EdlEEvT1_S1_S1_PKT0_PKS1_21rocsparse_index_base_22rocsparse_matrix_type_20rocsparse_fill_mode_23rocsparse_storage_mode_P22rocsparse_data_status_.numbered_sgpr, 30
	.set _ZN9rocsparseL23check_matrix_ell_deviceILj256EdlEEvT1_S1_S1_PKT0_PKS1_21rocsparse_index_base_22rocsparse_matrix_type_20rocsparse_fill_mode_23rocsparse_storage_mode_P22rocsparse_data_status_.num_named_barrier, 0
	.set _ZN9rocsparseL23check_matrix_ell_deviceILj256EdlEEvT1_S1_S1_PKT0_PKS1_21rocsparse_index_base_22rocsparse_matrix_type_20rocsparse_fill_mode_23rocsparse_storage_mode_P22rocsparse_data_status_.private_seg_size, 0
	.set _ZN9rocsparseL23check_matrix_ell_deviceILj256EdlEEvT1_S1_S1_PKT0_PKS1_21rocsparse_index_base_22rocsparse_matrix_type_20rocsparse_fill_mode_23rocsparse_storage_mode_P22rocsparse_data_status_.uses_vcc, 1
	.set _ZN9rocsparseL23check_matrix_ell_deviceILj256EdlEEvT1_S1_S1_PKT0_PKS1_21rocsparse_index_base_22rocsparse_matrix_type_20rocsparse_fill_mode_23rocsparse_storage_mode_P22rocsparse_data_status_.uses_flat_scratch, 0
	.set _ZN9rocsparseL23check_matrix_ell_deviceILj256EdlEEvT1_S1_S1_PKT0_PKS1_21rocsparse_index_base_22rocsparse_matrix_type_20rocsparse_fill_mode_23rocsparse_storage_mode_P22rocsparse_data_status_.has_dyn_sized_stack, 0
	.set _ZN9rocsparseL23check_matrix_ell_deviceILj256EdlEEvT1_S1_S1_PKT0_PKS1_21rocsparse_index_base_22rocsparse_matrix_type_20rocsparse_fill_mode_23rocsparse_storage_mode_P22rocsparse_data_status_.has_recursion, 0
	.set _ZN9rocsparseL23check_matrix_ell_deviceILj256EdlEEvT1_S1_S1_PKT0_PKS1_21rocsparse_index_base_22rocsparse_matrix_type_20rocsparse_fill_mode_23rocsparse_storage_mode_P22rocsparse_data_status_.has_indirect_call, 0
	.section	.AMDGPU.csdata,"",@progbits
; Kernel info:
; codeLenInByte = 844
; TotalNumSgprs: 32
; NumVgprs: 11
; ScratchSize: 0
; MemoryBound: 1
; FloatMode: 240
; IeeeMode: 1
; LDSByteSize: 0 bytes/workgroup (compile time only)
; SGPRBlocks: 0
; VGPRBlocks: 0
; NumSGPRsForWavesPerEU: 32
; NumVGPRsForWavesPerEU: 11
; NamedBarCnt: 0
; Occupancy: 16
; WaveLimiterHint : 0
; COMPUTE_PGM_RSRC2:SCRATCH_EN: 0
; COMPUTE_PGM_RSRC2:USER_SGPR: 2
; COMPUTE_PGM_RSRC2:TRAP_HANDLER: 0
; COMPUTE_PGM_RSRC2:TGID_X_EN: 1
; COMPUTE_PGM_RSRC2:TGID_Y_EN: 0
; COMPUTE_PGM_RSRC2:TGID_Z_EN: 0
; COMPUTE_PGM_RSRC2:TIDIG_COMP_CNT: 0
	.section	.text._ZN9rocsparseL23check_matrix_ell_deviceILj256E21rocsparse_complex_numIfElEEvT1_S3_S3_PKT0_PKS3_21rocsparse_index_base_22rocsparse_matrix_type_20rocsparse_fill_mode_23rocsparse_storage_mode_P22rocsparse_data_status_,"axG",@progbits,_ZN9rocsparseL23check_matrix_ell_deviceILj256E21rocsparse_complex_numIfElEEvT1_S3_S3_PKT0_PKS3_21rocsparse_index_base_22rocsparse_matrix_type_20rocsparse_fill_mode_23rocsparse_storage_mode_P22rocsparse_data_status_,comdat
	.globl	_ZN9rocsparseL23check_matrix_ell_deviceILj256E21rocsparse_complex_numIfElEEvT1_S3_S3_PKT0_PKS3_21rocsparse_index_base_22rocsparse_matrix_type_20rocsparse_fill_mode_23rocsparse_storage_mode_P22rocsparse_data_status_ ; -- Begin function _ZN9rocsparseL23check_matrix_ell_deviceILj256E21rocsparse_complex_numIfElEEvT1_S3_S3_PKT0_PKS3_21rocsparse_index_base_22rocsparse_matrix_type_20rocsparse_fill_mode_23rocsparse_storage_mode_P22rocsparse_data_status_
	.p2align	8
	.type	_ZN9rocsparseL23check_matrix_ell_deviceILj256E21rocsparse_complex_numIfElEEvT1_S3_S3_PKT0_PKS3_21rocsparse_index_base_22rocsparse_matrix_type_20rocsparse_fill_mode_23rocsparse_storage_mode_P22rocsparse_data_status_,@function
_ZN9rocsparseL23check_matrix_ell_deviceILj256E21rocsparse_complex_numIfElEEvT1_S3_S3_PKT0_PKS3_21rocsparse_index_base_22rocsparse_matrix_type_20rocsparse_fill_mode_23rocsparse_storage_mode_P22rocsparse_data_status_: ; @_ZN9rocsparseL23check_matrix_ell_deviceILj256E21rocsparse_complex_numIfElEEvT1_S3_S3_PKT0_PKS3_21rocsparse_index_base_22rocsparse_matrix_type_20rocsparse_fill_mode_23rocsparse_storage_mode_P22rocsparse_data_status_
; %bb.0:
	s_load_b128 s[4:7], s[0:1], 0x0
	s_bfe_u32 s2, ttmp6, 0x4000c
	s_and_b32 s3, ttmp6, 15
	s_add_co_i32 s2, s2, 1
	s_getreg_b32 s8, hwreg(HW_REG_IB_STS2, 6, 4)
	s_mul_i32 s2, ttmp9, s2
	v_mov_b32_e32 v1, 0
	s_add_co_i32 s3, s3, s2
	s_cmp_eq_u32 s8, 0
	s_cselect_b32 s2, ttmp9, s3
	s_delay_alu instid0(SALU_CYCLE_1) | instskip(SKIP_2) | instid1(VALU_DEP_1)
	v_lshl_or_b32 v0, s2, 8, v0
	s_mov_b32 s2, exec_lo
	s_wait_kmcnt 0x0
	v_cmpx_gt_i64_e64 s[4:5], v[0:1]
	s_cbranch_execz .LBB6_28
; %bb.1:
	s_load_b64 s[12:13], s[0:1], 0x10
	s_wait_kmcnt 0x0
	v_cmp_lt_i64_e64 s2, s[12:13], 1
	s_and_b32 vcc_lo, exec_lo, s2
	s_cbranch_vccnz .LBB6_28
; %bb.2:
	s_load_b64 s[8:9], s[0:1], 0x20
	s_wait_kmcnt 0x0
	v_lshl_add_u64 v[2:3], v[0:1], 3, s[8:9]
	global_load_b64 v[2:3], v[2:3], off
	s_wait_loadcnt 0x0
	v_cmp_ne_u64_e32 vcc_lo, -1, v[2:3]
	s_and_b32 exec_lo, exec_lo, vcc_lo
	s_cbranch_execz .LBB6_28
; %bb.3:
	s_load_b32 s10, s[0:1], 0x28
	s_mov_b32 s11, 0
	v_mov_b32_e32 v6, 4
	s_wait_kmcnt 0x0
	v_sub_nc_u64_e64 v[2:3], v[2:3], s[10:11]
	s_delay_alu instid0(VALU_DEP_1) | instskip(SKIP_2) | instid1(SALU_CYCLE_1)
	v_cmp_lt_i64_e32 vcc_lo, -1, v[2:3]
	v_cmp_gt_i64_e64 s2, s[6:7], v[2:3]
	s_and_b32 s2, vcc_lo, s2
	s_xor_b32 s3, s2, -1
	s_and_saveexec_b32 s18, s2
	s_cbranch_execz .LBB6_26
; %bb.4:
	s_load_b64 s[14:15], s[0:1], 0x18
	v_mov_b32_e32 v6, 1
	s_wait_kmcnt 0x0
	v_lshl_add_u64 v[2:3], v[0:1], 3, s[14:15]
	global_load_b64 v[2:3], v[2:3], off
	s_wait_loadcnt 0x0
	v_cmp_eq_f32_e32 vcc_lo, 0x7f800000, v2
	v_cmp_eq_f32_e64 s2, 0x7f800000, v3
	s_or_b32 s19, vcc_lo, s2
	s_delay_alu instid0(SALU_CYCLE_1) | instskip(NEXT) | instid1(SALU_CYCLE_1)
	s_xor_b32 s2, s19, -1
	s_and_saveexec_b32 s20, s2
	s_cbranch_execz .LBB6_25
; %bb.5:
	v_mov_b32_e32 v6, 2
	s_mov_b32 s2, -1
	s_mov_b32 s21, exec_lo
	v_cmpx_o_f32_e32 v2, v3
	s_cbranch_execz .LBB6_24
; %bb.6:
	s_cmp_lg_u64 s[12:13], 1
	s_cbranch_scc0 .LBB6_21
; %bb.7:
	s_load_b32 s2, s[0:1], 0x34
	v_lshlrev_b64_e32 v[0:1], 3, v[0:1]
	s_mov_b32 s22, 0
	s_add_nc_u64 s[12:13], s[12:13], -1
                                        ; implicit-def: $sgpr24
                                        ; implicit-def: $sgpr26
                                        ; implicit-def: $sgpr27
	s_wait_kmcnt 0x0
	s_cmp_eq_u32 s2, 0
	s_cselect_b32 s23, -1, 0
	s_cmp_lg_u32 s2, 0
	s_cselect_b32 s25, -1, 0
	s_lshl_b64 s[4:5], s[4:5], 3
	s_delay_alu instid0(SALU_CYCLE_1)
	s_add_nc_u64 s[14:15], s[14:15], s[4:5]
	s_add_nc_u64 s[16:17], s[8:9], s[4:5]
	s_branch .LBB6_13
.LBB6_8:                                ;   in Loop: Header=BB6_13 Depth=1
	s_or_b32 exec_lo, exec_lo, s35
	v_mov_b32_e32 v6, s31
	s_and_b32 s33, s33, exec_lo
	s_or_not1_b32 s31, s34, exec_lo
.LBB6_9:                                ;   in Loop: Header=BB6_13 Depth=1
	s_or_b32 exec_lo, exec_lo, s30
	s_delay_alu instid0(SALU_CYCLE_1)
	s_and_b32 s33, s33, exec_lo
	s_or_not1_b32 s30, s31, exec_lo
.LBB6_10:                               ;   in Loop: Header=BB6_13 Depth=1
	s_or_b32 exec_lo, exec_lo, s2
	s_delay_alu instid0(SALU_CYCLE_1)
	s_and_b32 s2, s33, exec_lo
	s_or_not1_b32 s30, s30, exec_lo
.LBB6_11:                               ;   in Loop: Header=BB6_13 Depth=1
	s_or_b32 exec_lo, exec_lo, s29
	s_delay_alu instid0(SALU_CYCLE_1)
	s_and_not1_b32 s27, s27, exec_lo
	s_and_b32 s2, s2, exec_lo
	s_and_not1_b32 s26, s26, exec_lo
	s_and_b32 s29, s30, exec_lo
	s_or_b32 s27, s27, s2
	s_or_b32 s26, s26, s29
.LBB6_12:                               ;   in Loop: Header=BB6_13 Depth=1
	s_or_b32 exec_lo, exec_lo, s28
	s_xor_b32 s2, s27, -1
	s_and_b32 s28, exec_lo, s26
	s_delay_alu instid0(SALU_CYCLE_1) | instskip(SKIP_2) | instid1(SALU_CYCLE_1)
	s_or_b32 s22, s28, s22
	s_and_not1_b32 s24, s24, exec_lo
	s_and_b32 s2, s2, exec_lo
	s_or_b32 s24, s24, s2
	s_and_not1_b32 exec_lo, exec_lo, s22
	s_cbranch_execz .LBB6_22
.LBB6_13:                               ; =>This Inner Loop Header: Depth=1
	v_add_nc_u64_e32 v[2:3], s[16:17], v[0:1]
	s_or_b32 s27, s27, exec_lo
	s_or_b32 s26, s26, exec_lo
	s_mov_b32 s28, exec_lo
                                        ; implicit-def: $vgpr6
	global_load_b64 v[2:3], v[2:3], off
	s_wait_loadcnt 0x0
	v_cmpx_ne_u64_e32 -1, v[2:3]
	s_cbranch_execz .LBB6_12
; %bb.14:                               ;   in Loop: Header=BB6_13 Depth=1
	v_sub_nc_u64_e64 v[4:5], v[2:3], s[10:11]
	v_mov_b32_e32 v6, 4
	s_mov_b32 s30, -1
	s_delay_alu instid0(VALU_DEP_2)
	v_cmp_lt_i64_e32 vcc_lo, -1, v[4:5]
	v_cmp_gt_i64_e64 s2, s[6:7], v[4:5]
	s_and_b32 s31, vcc_lo, s2
	s_mov_b32 s2, 0
	s_and_saveexec_b32 s29, s31
	s_cbranch_execz .LBB6_11
; %bb.15:                               ;   in Loop: Header=BB6_13 Depth=1
	v_add_nc_u64_e32 v[4:5], s[14:15], v[0:1]
	v_mov_b32_e32 v6, 1
	s_mov_b32 s33, 0
	global_load_b64 v[4:5], v[4:5], off
	s_wait_loadcnt 0x0
	v_cmp_neq_f32_e32 vcc_lo, 0x7f800000, v4
	v_cmp_neq_f32_e64 s2, 0x7f800000, v5
	s_and_b32 s31, vcc_lo, s2
	s_delay_alu instid0(SALU_CYCLE_1)
	s_and_saveexec_b32 s2, s31
	s_cbranch_execz .LBB6_10
; %bb.16:                               ;   in Loop: Header=BB6_13 Depth=1
	v_mov_b32_e32 v6, 2
	s_mov_b32 s31, -1
	s_mov_b32 s30, exec_lo
	v_cmpx_o_f32_e32 v4, v5
	s_cbranch_execz .LBB6_9
; %bb.17:                               ;   in Loop: Header=BB6_13 Depth=1
	s_mov_b32 s31, 2
	s_and_b32 vcc_lo, exec_lo, s23
	s_mov_b32 s36, s25
	s_cbranch_vccz .LBB6_19
; %bb.18:                               ;   in Loop: Header=BB6_13 Depth=1
	v_add_nc_u64_e32 v[4:5], s[8:9], v[0:1]
	s_and_not1_b32 s33, s25, exec_lo
	s_mov_b32 s31, 6
	global_load_b64 v[4:5], v[4:5], off
	s_wait_loadcnt 0x0
	v_cmp_lt_i64_e32 vcc_lo, v[4:5], v[2:3]
	s_and_b32 s34, vcc_lo, exec_lo
	s_delay_alu instid0(SALU_CYCLE_1)
	s_or_b32 s36, s33, s34
.LBB6_19:                               ;   in Loop: Header=BB6_13 Depth=1
	s_mov_b32 s34, -1
	s_mov_b32 s33, 0
	s_and_saveexec_b32 s35, s36
	s_cbranch_execz .LBB6_8
; %bb.20:                               ;   in Loop: Header=BB6_13 Depth=1
	s_add_nc_u64 s[12:13], s[12:13], -1
	v_add_nc_u64_e32 v[0:1], s[4:5], v[0:1]
	s_cmp_eq_u64 s[12:13], 0
	s_mov_b32 s33, exec_lo
	s_cselect_b32 s34, -1, 0
	s_delay_alu instid0(SALU_CYCLE_1)
	s_or_not1_b32 s34, s34, exec_lo
	s_branch .LBB6_8
.LBB6_21:
	v_mov_b32_e32 v6, 2
	s_mov_b32 s24, 0
	s_branch .LBB6_23
.LBB6_22:
	s_or_b32 exec_lo, exec_lo, s22
.LBB6_23:
	s_delay_alu instid0(SALU_CYCLE_1)
	s_or_not1_b32 s2, s24, exec_lo
.LBB6_24:
	s_or_b32 exec_lo, exec_lo, s21
	s_delay_alu instid0(SALU_CYCLE_1) | instskip(SKIP_1) | instid1(SALU_CYCLE_1)
	s_and_not1_b32 s4, s19, exec_lo
	s_and_b32 s2, s2, exec_lo
	s_or_b32 s19, s4, s2
.LBB6_25:
	s_or_b32 exec_lo, exec_lo, s20
	s_delay_alu instid0(SALU_CYCLE_1) | instskip(SKIP_1) | instid1(SALU_CYCLE_1)
	s_and_not1_b32 s2, s3, exec_lo
	s_and_b32 s3, s19, exec_lo
	s_or_b32 s3, s2, s3
.LBB6_26:
	s_or_b32 exec_lo, exec_lo, s18
	s_delay_alu instid0(SALU_CYCLE_1)
	s_and_b32 exec_lo, exec_lo, s3
	s_cbranch_execz .LBB6_28
; %bb.27:
	s_load_b64 s[0:1], s[0:1], 0x38
	v_mov_b32_e32 v0, 0
	s_wait_kmcnt 0x0
	global_store_b32 v0, v6, s[0:1]
.LBB6_28:
	s_endpgm
	.section	.rodata,"a",@progbits
	.p2align	6, 0x0
	.amdhsa_kernel _ZN9rocsparseL23check_matrix_ell_deviceILj256E21rocsparse_complex_numIfElEEvT1_S3_S3_PKT0_PKS3_21rocsparse_index_base_22rocsparse_matrix_type_20rocsparse_fill_mode_23rocsparse_storage_mode_P22rocsparse_data_status_
		.amdhsa_group_segment_fixed_size 0
		.amdhsa_private_segment_fixed_size 0
		.amdhsa_kernarg_size 64
		.amdhsa_user_sgpr_count 2
		.amdhsa_user_sgpr_dispatch_ptr 0
		.amdhsa_user_sgpr_queue_ptr 0
		.amdhsa_user_sgpr_kernarg_segment_ptr 1
		.amdhsa_user_sgpr_dispatch_id 0
		.amdhsa_user_sgpr_kernarg_preload_length 0
		.amdhsa_user_sgpr_kernarg_preload_offset 0
		.amdhsa_user_sgpr_private_segment_size 0
		.amdhsa_wavefront_size32 1
		.amdhsa_uses_dynamic_stack 0
		.amdhsa_enable_private_segment 0
		.amdhsa_system_sgpr_workgroup_id_x 1
		.amdhsa_system_sgpr_workgroup_id_y 0
		.amdhsa_system_sgpr_workgroup_id_z 0
		.amdhsa_system_sgpr_workgroup_info 0
		.amdhsa_system_vgpr_workitem_id 0
		.amdhsa_next_free_vgpr 7
		.amdhsa_next_free_sgpr 37
		.amdhsa_named_barrier_count 0
		.amdhsa_reserve_vcc 1
		.amdhsa_float_round_mode_32 0
		.amdhsa_float_round_mode_16_64 0
		.amdhsa_float_denorm_mode_32 3
		.amdhsa_float_denorm_mode_16_64 3
		.amdhsa_fp16_overflow 0
		.amdhsa_memory_ordered 1
		.amdhsa_forward_progress 1
		.amdhsa_inst_pref_size 7
		.amdhsa_round_robin_scheduling 0
		.amdhsa_exception_fp_ieee_invalid_op 0
		.amdhsa_exception_fp_denorm_src 0
		.amdhsa_exception_fp_ieee_div_zero 0
		.amdhsa_exception_fp_ieee_overflow 0
		.amdhsa_exception_fp_ieee_underflow 0
		.amdhsa_exception_fp_ieee_inexact 0
		.amdhsa_exception_int_div_zero 0
	.end_amdhsa_kernel
	.section	.text._ZN9rocsparseL23check_matrix_ell_deviceILj256E21rocsparse_complex_numIfElEEvT1_S3_S3_PKT0_PKS3_21rocsparse_index_base_22rocsparse_matrix_type_20rocsparse_fill_mode_23rocsparse_storage_mode_P22rocsparse_data_status_,"axG",@progbits,_ZN9rocsparseL23check_matrix_ell_deviceILj256E21rocsparse_complex_numIfElEEvT1_S3_S3_PKT0_PKS3_21rocsparse_index_base_22rocsparse_matrix_type_20rocsparse_fill_mode_23rocsparse_storage_mode_P22rocsparse_data_status_,comdat
.Lfunc_end6:
	.size	_ZN9rocsparseL23check_matrix_ell_deviceILj256E21rocsparse_complex_numIfElEEvT1_S3_S3_PKT0_PKS3_21rocsparse_index_base_22rocsparse_matrix_type_20rocsparse_fill_mode_23rocsparse_storage_mode_P22rocsparse_data_status_, .Lfunc_end6-_ZN9rocsparseL23check_matrix_ell_deviceILj256E21rocsparse_complex_numIfElEEvT1_S3_S3_PKT0_PKS3_21rocsparse_index_base_22rocsparse_matrix_type_20rocsparse_fill_mode_23rocsparse_storage_mode_P22rocsparse_data_status_
                                        ; -- End function
	.set _ZN9rocsparseL23check_matrix_ell_deviceILj256E21rocsparse_complex_numIfElEEvT1_S3_S3_PKT0_PKS3_21rocsparse_index_base_22rocsparse_matrix_type_20rocsparse_fill_mode_23rocsparse_storage_mode_P22rocsparse_data_status_.num_vgpr, 7
	.set _ZN9rocsparseL23check_matrix_ell_deviceILj256E21rocsparse_complex_numIfElEEvT1_S3_S3_PKT0_PKS3_21rocsparse_index_base_22rocsparse_matrix_type_20rocsparse_fill_mode_23rocsparse_storage_mode_P22rocsparse_data_status_.num_agpr, 0
	.set _ZN9rocsparseL23check_matrix_ell_deviceILj256E21rocsparse_complex_numIfElEEvT1_S3_S3_PKT0_PKS3_21rocsparse_index_base_22rocsparse_matrix_type_20rocsparse_fill_mode_23rocsparse_storage_mode_P22rocsparse_data_status_.numbered_sgpr, 37
	.set _ZN9rocsparseL23check_matrix_ell_deviceILj256E21rocsparse_complex_numIfElEEvT1_S3_S3_PKT0_PKS3_21rocsparse_index_base_22rocsparse_matrix_type_20rocsparse_fill_mode_23rocsparse_storage_mode_P22rocsparse_data_status_.num_named_barrier, 0
	.set _ZN9rocsparseL23check_matrix_ell_deviceILj256E21rocsparse_complex_numIfElEEvT1_S3_S3_PKT0_PKS3_21rocsparse_index_base_22rocsparse_matrix_type_20rocsparse_fill_mode_23rocsparse_storage_mode_P22rocsparse_data_status_.private_seg_size, 0
	.set _ZN9rocsparseL23check_matrix_ell_deviceILj256E21rocsparse_complex_numIfElEEvT1_S3_S3_PKT0_PKS3_21rocsparse_index_base_22rocsparse_matrix_type_20rocsparse_fill_mode_23rocsparse_storage_mode_P22rocsparse_data_status_.uses_vcc, 1
	.set _ZN9rocsparseL23check_matrix_ell_deviceILj256E21rocsparse_complex_numIfElEEvT1_S3_S3_PKT0_PKS3_21rocsparse_index_base_22rocsparse_matrix_type_20rocsparse_fill_mode_23rocsparse_storage_mode_P22rocsparse_data_status_.uses_flat_scratch, 0
	.set _ZN9rocsparseL23check_matrix_ell_deviceILj256E21rocsparse_complex_numIfElEEvT1_S3_S3_PKT0_PKS3_21rocsparse_index_base_22rocsparse_matrix_type_20rocsparse_fill_mode_23rocsparse_storage_mode_P22rocsparse_data_status_.has_dyn_sized_stack, 0
	.set _ZN9rocsparseL23check_matrix_ell_deviceILj256E21rocsparse_complex_numIfElEEvT1_S3_S3_PKT0_PKS3_21rocsparse_index_base_22rocsparse_matrix_type_20rocsparse_fill_mode_23rocsparse_storage_mode_P22rocsparse_data_status_.has_recursion, 0
	.set _ZN9rocsparseL23check_matrix_ell_deviceILj256E21rocsparse_complex_numIfElEEvT1_S3_S3_PKT0_PKS3_21rocsparse_index_base_22rocsparse_matrix_type_20rocsparse_fill_mode_23rocsparse_storage_mode_P22rocsparse_data_status_.has_indirect_call, 0
	.section	.AMDGPU.csdata,"",@progbits
; Kernel info:
; codeLenInByte = 896
; TotalNumSgprs: 39
; NumVgprs: 7
; ScratchSize: 0
; MemoryBound: 0
; FloatMode: 240
; IeeeMode: 1
; LDSByteSize: 0 bytes/workgroup (compile time only)
; SGPRBlocks: 0
; VGPRBlocks: 0
; NumSGPRsForWavesPerEU: 39
; NumVGPRsForWavesPerEU: 7
; NamedBarCnt: 0
; Occupancy: 16
; WaveLimiterHint : 0
; COMPUTE_PGM_RSRC2:SCRATCH_EN: 0
; COMPUTE_PGM_RSRC2:USER_SGPR: 2
; COMPUTE_PGM_RSRC2:TRAP_HANDLER: 0
; COMPUTE_PGM_RSRC2:TGID_X_EN: 1
; COMPUTE_PGM_RSRC2:TGID_Y_EN: 0
; COMPUTE_PGM_RSRC2:TGID_Z_EN: 0
; COMPUTE_PGM_RSRC2:TIDIG_COMP_CNT: 0
	.section	.text._ZN9rocsparseL23check_matrix_ell_deviceILj256E21rocsparse_complex_numIdElEEvT1_S3_S3_PKT0_PKS3_21rocsparse_index_base_22rocsparse_matrix_type_20rocsparse_fill_mode_23rocsparse_storage_mode_P22rocsparse_data_status_,"axG",@progbits,_ZN9rocsparseL23check_matrix_ell_deviceILj256E21rocsparse_complex_numIdElEEvT1_S3_S3_PKT0_PKS3_21rocsparse_index_base_22rocsparse_matrix_type_20rocsparse_fill_mode_23rocsparse_storage_mode_P22rocsparse_data_status_,comdat
	.globl	_ZN9rocsparseL23check_matrix_ell_deviceILj256E21rocsparse_complex_numIdElEEvT1_S3_S3_PKT0_PKS3_21rocsparse_index_base_22rocsparse_matrix_type_20rocsparse_fill_mode_23rocsparse_storage_mode_P22rocsparse_data_status_ ; -- Begin function _ZN9rocsparseL23check_matrix_ell_deviceILj256E21rocsparse_complex_numIdElEEvT1_S3_S3_PKT0_PKS3_21rocsparse_index_base_22rocsparse_matrix_type_20rocsparse_fill_mode_23rocsparse_storage_mode_P22rocsparse_data_status_
	.p2align	8
	.type	_ZN9rocsparseL23check_matrix_ell_deviceILj256E21rocsparse_complex_numIdElEEvT1_S3_S3_PKT0_PKS3_21rocsparse_index_base_22rocsparse_matrix_type_20rocsparse_fill_mode_23rocsparse_storage_mode_P22rocsparse_data_status_,@function
_ZN9rocsparseL23check_matrix_ell_deviceILj256E21rocsparse_complex_numIdElEEvT1_S3_S3_PKT0_PKS3_21rocsparse_index_base_22rocsparse_matrix_type_20rocsparse_fill_mode_23rocsparse_storage_mode_P22rocsparse_data_status_: ; @_ZN9rocsparseL23check_matrix_ell_deviceILj256E21rocsparse_complex_numIdElEEvT1_S3_S3_PKT0_PKS3_21rocsparse_index_base_22rocsparse_matrix_type_20rocsparse_fill_mode_23rocsparse_storage_mode_P22rocsparse_data_status_
; %bb.0:
	s_load_b128 s[4:7], s[0:1], 0x0
	s_bfe_u32 s2, ttmp6, 0x4000c
	s_and_b32 s3, ttmp6, 15
	s_add_co_i32 s2, s2, 1
	s_getreg_b32 s8, hwreg(HW_REG_IB_STS2, 6, 4)
	s_mul_i32 s2, ttmp9, s2
	v_mov_b32_e32 v5, 0
	s_add_co_i32 s3, s3, s2
	s_cmp_eq_u32 s8, 0
	s_cselect_b32 s2, ttmp9, s3
	s_delay_alu instid0(SALU_CYCLE_1) | instskip(SKIP_2) | instid1(VALU_DEP_1)
	v_lshl_or_b32 v4, s2, 8, v0
	s_mov_b32 s2, exec_lo
	s_wait_kmcnt 0x0
	v_cmpx_gt_i64_e64 s[4:5], v[4:5]
	s_cbranch_execz .LBB7_28
; %bb.1:
	s_load_b64 s[12:13], s[0:1], 0x10
	s_wait_kmcnt 0x0
	v_cmp_lt_i64_e64 s2, s[12:13], 1
	s_and_b32 vcc_lo, exec_lo, s2
	s_cbranch_vccnz .LBB7_28
; %bb.2:
	s_load_b64 s[2:3], s[0:1], 0x20
	s_wait_kmcnt 0x0
	v_lshl_add_u64 v[8:9], v[4:5], 3, s[2:3]
	global_load_b64 v[0:1], v[8:9], off
	s_wait_loadcnt 0x0
	v_cmp_ne_u64_e32 vcc_lo, -1, v[0:1]
	s_and_b32 exec_lo, exec_lo, vcc_lo
	s_cbranch_execz .LBB7_28
; %bb.3:
	s_load_b32 s8, s[0:1], 0x28
	s_mov_b32 s9, 0
	v_mov_b32_e32 v12, 4
	s_wait_kmcnt 0x0
	v_sub_nc_u64_e64 v[0:1], v[0:1], s[8:9]
	s_delay_alu instid0(VALU_DEP_1) | instskip(SKIP_2) | instid1(SALU_CYCLE_1)
	v_cmp_lt_i64_e32 vcc_lo, -1, v[0:1]
	v_cmp_gt_i64_e64 s2, s[6:7], v[0:1]
	s_and_b32 s2, vcc_lo, s2
	s_xor_b32 s3, s2, -1
	s_and_saveexec_b32 s16, s2
	s_cbranch_execz .LBB7_26
; %bb.4:
	s_load_b64 s[14:15], s[0:1], 0x18
	v_mov_b32_e32 v12, 1
	s_wait_kmcnt 0x0
	v_lshl_add_u64 v[0:1], v[4:5], 4, s[14:15]
	global_load_b128 v[0:3], v[0:1], off
	s_wait_loadcnt 0x0
	v_cmp_eq_f64_e32 vcc_lo, 0x7ff00000, v[0:1]
	v_cmp_eq_f64_e64 s2, 0x7ff00000, v[2:3]
	s_or_b32 s17, vcc_lo, s2
	s_delay_alu instid0(SALU_CYCLE_1) | instskip(NEXT) | instid1(SALU_CYCLE_1)
	s_xor_b32 s2, s17, -1
	s_and_saveexec_b32 s18, s2
	s_cbranch_execz .LBB7_25
; %bb.5:
	v_mov_b32_e32 v12, 2
	s_mov_b32 s2, -1
	s_mov_b32 s19, exec_lo
	v_cmpx_o_f64_e32 v[0:1], v[2:3]
	s_cbranch_execz .LBB7_24
; %bb.6:
	s_cmp_lg_u64 s[12:13], 1
	s_cbranch_scc0 .LBB7_21
; %bb.7:
	s_load_b32 s2, s[0:1], 0x34
	s_add_nc_u64 s[12:13], s[12:13], -1
                                        ; implicit-def: $sgpr22
                                        ; implicit-def: $sgpr23
	s_wait_kmcnt 0x0
	s_cmp_eq_u32 s2, 0
	s_cselect_b32 s20, -1, 0
	s_cmp_lg_u32 s2, 0
	s_cselect_b32 s21, -1, 0
	s_lshl_b64 s[10:11], s[4:5], 4
	s_lshl_b64 s[4:5], s[4:5], 3
	s_add_nc_u64 s[14:15], s[14:15], s[10:11]
	s_delay_alu instid0(SALU_CYCLE_1) | instskip(SKIP_1) | instid1(VALU_DEP_1)
	v_lshl_add_u64 v[0:1], v[4:5], 4, s[14:15]
	s_mov_b32 s15, 0
                                        ; implicit-def: $sgpr14
	v_add_nc_u64_e32 v[4:5], 8, v[0:1]
	s_branch .LBB7_13
.LBB7_8:                                ;   in Loop: Header=BB7_13 Depth=1
	s_or_b32 exec_lo, exec_lo, s30
	v_mov_b32_e32 v12, s27
	s_and_b32 s28, s28, exec_lo
	s_or_not1_b32 s27, s29, exec_lo
.LBB7_9:                                ;   in Loop: Header=BB7_13 Depth=1
	s_or_b32 exec_lo, exec_lo, s26
	s_delay_alu instid0(SALU_CYCLE_1)
	s_and_b32 s28, s28, exec_lo
	s_or_not1_b32 s26, s27, exec_lo
.LBB7_10:                               ;   in Loop: Header=BB7_13 Depth=1
	s_or_b32 exec_lo, exec_lo, s2
	s_delay_alu instid0(SALU_CYCLE_1)
	s_and_b32 s2, s28, exec_lo
	s_or_not1_b32 s26, s26, exec_lo
.LBB7_11:                               ;   in Loop: Header=BB7_13 Depth=1
	s_or_b32 exec_lo, exec_lo, s25
	s_delay_alu instid0(SALU_CYCLE_1)
	s_and_not1_b32 s23, s23, exec_lo
	s_and_b32 s2, s2, exec_lo
	s_and_not1_b32 s22, s22, exec_lo
	s_and_b32 s25, s26, exec_lo
	s_or_b32 s23, s23, s2
	s_or_b32 s22, s22, s25
.LBB7_12:                               ;   in Loop: Header=BB7_13 Depth=1
	s_or_b32 exec_lo, exec_lo, s24
	s_xor_b32 s2, s23, -1
	s_and_b32 s24, exec_lo, s22
	v_mov_b64_e32 v[8:9], v[6:7]
	s_or_b32 s15, s24, s15
	s_and_not1_b32 s14, s14, exec_lo
	s_and_b32 s2, s2, exec_lo
	s_delay_alu instid0(SALU_CYCLE_1)
	s_or_b32 s14, s14, s2
	s_and_not1_b32 exec_lo, exec_lo, s15
	s_cbranch_execz .LBB7_22
.LBB7_13:                               ; =>This Inner Loop Header: Depth=1
	v_add_nc_u64_e32 v[6:7], s[4:5], v[8:9]
	s_or_b32 s23, s23, exec_lo
	s_or_b32 s22, s22, exec_lo
	s_mov_b32 s24, exec_lo
                                        ; implicit-def: $vgpr12
	global_load_b64 v[10:11], v[6:7], off
	s_wait_loadcnt 0x0
	v_cmpx_ne_u64_e32 -1, v[10:11]
	s_cbranch_execz .LBB7_12
; %bb.14:                               ;   in Loop: Header=BB7_13 Depth=1
	v_sub_nc_u64_e64 v[0:1], v[10:11], s[8:9]
	v_mov_b32_e32 v12, 4
	s_mov_b32 s26, -1
	s_delay_alu instid0(VALU_DEP_2)
	v_cmp_lt_i64_e32 vcc_lo, -1, v[0:1]
	v_cmp_gt_i64_e64 s2, s[6:7], v[0:1]
	s_and_b32 s27, vcc_lo, s2
	s_mov_b32 s2, 0
	s_and_saveexec_b32 s25, s27
	s_cbranch_execz .LBB7_11
; %bb.15:                               ;   in Loop: Header=BB7_13 Depth=1
	global_load_b128 v[0:3], v[4:5], off offset:-8
	v_mov_b32_e32 v12, 1
	s_mov_b32 s28, 0
	s_wait_loadcnt 0x0
	v_cmp_neq_f64_e32 vcc_lo, 0x7ff00000, v[0:1]
	v_cmp_neq_f64_e64 s2, 0x7ff00000, v[2:3]
	s_and_b32 s27, vcc_lo, s2
	s_delay_alu instid0(SALU_CYCLE_1)
	s_and_saveexec_b32 s2, s27
	s_cbranch_execz .LBB7_10
; %bb.16:                               ;   in Loop: Header=BB7_13 Depth=1
	v_mov_b32_e32 v12, 2
	s_mov_b32 s27, -1
	s_mov_b32 s26, exec_lo
	v_cmpx_o_f64_e32 v[0:1], v[2:3]
	s_cbranch_execz .LBB7_9
; %bb.17:                               ;   in Loop: Header=BB7_13 Depth=1
	s_mov_b32 s27, 2
	s_and_b32 vcc_lo, exec_lo, s20
	s_mov_b32 s31, s21
	s_cbranch_vccz .LBB7_19
; %bb.18:                               ;   in Loop: Header=BB7_13 Depth=1
	global_load_b64 v[0:1], v[8:9], off
	s_and_not1_b32 s28, s21, exec_lo
	s_mov_b32 s27, 6
	s_wait_loadcnt 0x0
	v_cmp_lt_i64_e32 vcc_lo, v[0:1], v[10:11]
	s_and_b32 s29, vcc_lo, exec_lo
	s_delay_alu instid0(SALU_CYCLE_1)
	s_or_b32 s31, s28, s29
.LBB7_19:                               ;   in Loop: Header=BB7_13 Depth=1
	s_mov_b32 s29, -1
	s_mov_b32 s28, 0
	s_and_saveexec_b32 s30, s31
	s_cbranch_execz .LBB7_8
; %bb.20:                               ;   in Loop: Header=BB7_13 Depth=1
	s_add_nc_u64 s[12:13], s[12:13], -1
	v_add_nc_u64_e32 v[4:5], s[10:11], v[4:5]
	s_cmp_eq_u64 s[12:13], 0
	s_mov_b32 s28, exec_lo
	s_cselect_b32 s29, -1, 0
	s_delay_alu instid0(SALU_CYCLE_1)
	s_or_not1_b32 s29, s29, exec_lo
	s_branch .LBB7_8
.LBB7_21:
	v_mov_b32_e32 v12, 2
	s_mov_b32 s14, 0
	s_branch .LBB7_23
.LBB7_22:
	s_or_b32 exec_lo, exec_lo, s15
.LBB7_23:
	s_delay_alu instid0(SALU_CYCLE_1)
	s_or_not1_b32 s2, s14, exec_lo
.LBB7_24:
	s_or_b32 exec_lo, exec_lo, s19
	s_delay_alu instid0(SALU_CYCLE_1) | instskip(SKIP_1) | instid1(SALU_CYCLE_1)
	s_and_not1_b32 s4, s17, exec_lo
	s_and_b32 s2, s2, exec_lo
	s_or_b32 s17, s4, s2
.LBB7_25:
	s_or_b32 exec_lo, exec_lo, s18
	s_delay_alu instid0(SALU_CYCLE_1) | instskip(SKIP_1) | instid1(SALU_CYCLE_1)
	s_and_not1_b32 s2, s3, exec_lo
	s_and_b32 s3, s17, exec_lo
	s_or_b32 s3, s2, s3
.LBB7_26:
	s_or_b32 exec_lo, exec_lo, s16
	s_delay_alu instid0(SALU_CYCLE_1)
	s_and_b32 exec_lo, exec_lo, s3
	s_cbranch_execz .LBB7_28
; %bb.27:
	s_load_b64 s[0:1], s[0:1], 0x38
	v_mov_b32_e32 v0, 0
	s_wait_kmcnt 0x0
	global_store_b32 v0, v12, s[0:1]
.LBB7_28:
	s_endpgm
	.section	.rodata,"a",@progbits
	.p2align	6, 0x0
	.amdhsa_kernel _ZN9rocsparseL23check_matrix_ell_deviceILj256E21rocsparse_complex_numIdElEEvT1_S3_S3_PKT0_PKS3_21rocsparse_index_base_22rocsparse_matrix_type_20rocsparse_fill_mode_23rocsparse_storage_mode_P22rocsparse_data_status_
		.amdhsa_group_segment_fixed_size 0
		.amdhsa_private_segment_fixed_size 0
		.amdhsa_kernarg_size 64
		.amdhsa_user_sgpr_count 2
		.amdhsa_user_sgpr_dispatch_ptr 0
		.amdhsa_user_sgpr_queue_ptr 0
		.amdhsa_user_sgpr_kernarg_segment_ptr 1
		.amdhsa_user_sgpr_dispatch_id 0
		.amdhsa_user_sgpr_kernarg_preload_length 0
		.amdhsa_user_sgpr_kernarg_preload_offset 0
		.amdhsa_user_sgpr_private_segment_size 0
		.amdhsa_wavefront_size32 1
		.amdhsa_uses_dynamic_stack 0
		.amdhsa_enable_private_segment 0
		.amdhsa_system_sgpr_workgroup_id_x 1
		.amdhsa_system_sgpr_workgroup_id_y 0
		.amdhsa_system_sgpr_workgroup_id_z 0
		.amdhsa_system_sgpr_workgroup_info 0
		.amdhsa_system_vgpr_workitem_id 0
		.amdhsa_next_free_vgpr 13
		.amdhsa_next_free_sgpr 32
		.amdhsa_named_barrier_count 0
		.amdhsa_reserve_vcc 1
		.amdhsa_float_round_mode_32 0
		.amdhsa_float_round_mode_16_64 0
		.amdhsa_float_denorm_mode_32 3
		.amdhsa_float_denorm_mode_16_64 3
		.amdhsa_fp16_overflow 0
		.amdhsa_memory_ordered 1
		.amdhsa_forward_progress 1
		.amdhsa_inst_pref_size 8
		.amdhsa_round_robin_scheduling 0
		.amdhsa_exception_fp_ieee_invalid_op 0
		.amdhsa_exception_fp_denorm_src 0
		.amdhsa_exception_fp_ieee_div_zero 0
		.amdhsa_exception_fp_ieee_overflow 0
		.amdhsa_exception_fp_ieee_underflow 0
		.amdhsa_exception_fp_ieee_inexact 0
		.amdhsa_exception_int_div_zero 0
	.end_amdhsa_kernel
	.section	.text._ZN9rocsparseL23check_matrix_ell_deviceILj256E21rocsparse_complex_numIdElEEvT1_S3_S3_PKT0_PKS3_21rocsparse_index_base_22rocsparse_matrix_type_20rocsparse_fill_mode_23rocsparse_storage_mode_P22rocsparse_data_status_,"axG",@progbits,_ZN9rocsparseL23check_matrix_ell_deviceILj256E21rocsparse_complex_numIdElEEvT1_S3_S3_PKT0_PKS3_21rocsparse_index_base_22rocsparse_matrix_type_20rocsparse_fill_mode_23rocsparse_storage_mode_P22rocsparse_data_status_,comdat
.Lfunc_end7:
	.size	_ZN9rocsparseL23check_matrix_ell_deviceILj256E21rocsparse_complex_numIdElEEvT1_S3_S3_PKT0_PKS3_21rocsparse_index_base_22rocsparse_matrix_type_20rocsparse_fill_mode_23rocsparse_storage_mode_P22rocsparse_data_status_, .Lfunc_end7-_ZN9rocsparseL23check_matrix_ell_deviceILj256E21rocsparse_complex_numIdElEEvT1_S3_S3_PKT0_PKS3_21rocsparse_index_base_22rocsparse_matrix_type_20rocsparse_fill_mode_23rocsparse_storage_mode_P22rocsparse_data_status_
                                        ; -- End function
	.set _ZN9rocsparseL23check_matrix_ell_deviceILj256E21rocsparse_complex_numIdElEEvT1_S3_S3_PKT0_PKS3_21rocsparse_index_base_22rocsparse_matrix_type_20rocsparse_fill_mode_23rocsparse_storage_mode_P22rocsparse_data_status_.num_vgpr, 13
	.set _ZN9rocsparseL23check_matrix_ell_deviceILj256E21rocsparse_complex_numIdElEEvT1_S3_S3_PKT0_PKS3_21rocsparse_index_base_22rocsparse_matrix_type_20rocsparse_fill_mode_23rocsparse_storage_mode_P22rocsparse_data_status_.num_agpr, 0
	.set _ZN9rocsparseL23check_matrix_ell_deviceILj256E21rocsparse_complex_numIdElEEvT1_S3_S3_PKT0_PKS3_21rocsparse_index_base_22rocsparse_matrix_type_20rocsparse_fill_mode_23rocsparse_storage_mode_P22rocsparse_data_status_.numbered_sgpr, 32
	.set _ZN9rocsparseL23check_matrix_ell_deviceILj256E21rocsparse_complex_numIdElEEvT1_S3_S3_PKT0_PKS3_21rocsparse_index_base_22rocsparse_matrix_type_20rocsparse_fill_mode_23rocsparse_storage_mode_P22rocsparse_data_status_.num_named_barrier, 0
	.set _ZN9rocsparseL23check_matrix_ell_deviceILj256E21rocsparse_complex_numIdElEEvT1_S3_S3_PKT0_PKS3_21rocsparse_index_base_22rocsparse_matrix_type_20rocsparse_fill_mode_23rocsparse_storage_mode_P22rocsparse_data_status_.private_seg_size, 0
	.set _ZN9rocsparseL23check_matrix_ell_deviceILj256E21rocsparse_complex_numIdElEEvT1_S3_S3_PKT0_PKS3_21rocsparse_index_base_22rocsparse_matrix_type_20rocsparse_fill_mode_23rocsparse_storage_mode_P22rocsparse_data_status_.uses_vcc, 1
	.set _ZN9rocsparseL23check_matrix_ell_deviceILj256E21rocsparse_complex_numIdElEEvT1_S3_S3_PKT0_PKS3_21rocsparse_index_base_22rocsparse_matrix_type_20rocsparse_fill_mode_23rocsparse_storage_mode_P22rocsparse_data_status_.uses_flat_scratch, 0
	.set _ZN9rocsparseL23check_matrix_ell_deviceILj256E21rocsparse_complex_numIdElEEvT1_S3_S3_PKT0_PKS3_21rocsparse_index_base_22rocsparse_matrix_type_20rocsparse_fill_mode_23rocsparse_storage_mode_P22rocsparse_data_status_.has_dyn_sized_stack, 0
	.set _ZN9rocsparseL23check_matrix_ell_deviceILj256E21rocsparse_complex_numIdElEEvT1_S3_S3_PKT0_PKS3_21rocsparse_index_base_22rocsparse_matrix_type_20rocsparse_fill_mode_23rocsparse_storage_mode_P22rocsparse_data_status_.has_recursion, 0
	.set _ZN9rocsparseL23check_matrix_ell_deviceILj256E21rocsparse_complex_numIdElEEvT1_S3_S3_PKT0_PKS3_21rocsparse_index_base_22rocsparse_matrix_type_20rocsparse_fill_mode_23rocsparse_storage_mode_P22rocsparse_data_status_.has_indirect_call, 0
	.section	.AMDGPU.csdata,"",@progbits
; Kernel info:
; codeLenInByte = 900
; TotalNumSgprs: 34
; NumVgprs: 13
; ScratchSize: 0
; MemoryBound: 1
; FloatMode: 240
; IeeeMode: 1
; LDSByteSize: 0 bytes/workgroup (compile time only)
; SGPRBlocks: 0
; VGPRBlocks: 0
; NumSGPRsForWavesPerEU: 34
; NumVGPRsForWavesPerEU: 13
; NamedBarCnt: 0
; Occupancy: 16
; WaveLimiterHint : 0
; COMPUTE_PGM_RSRC2:SCRATCH_EN: 0
; COMPUTE_PGM_RSRC2:USER_SGPR: 2
; COMPUTE_PGM_RSRC2:TRAP_HANDLER: 0
; COMPUTE_PGM_RSRC2:TGID_X_EN: 1
; COMPUTE_PGM_RSRC2:TGID_Y_EN: 0
; COMPUTE_PGM_RSRC2:TGID_Z_EN: 0
; COMPUTE_PGM_RSRC2:TIDIG_COMP_CNT: 0
	.section	.AMDGPU.gpr_maximums,"",@progbits
	.set amdgpu.max_num_vgpr, 0
	.set amdgpu.max_num_agpr, 0
	.set amdgpu.max_num_sgpr, 0
	.section	.AMDGPU.csdata,"",@progbits
	.type	__hip_cuid_5c6d1cb363ddea15,@object ; @__hip_cuid_5c6d1cb363ddea15
	.section	.bss,"aw",@nobits
	.globl	__hip_cuid_5c6d1cb363ddea15
__hip_cuid_5c6d1cb363ddea15:
	.byte	0                               ; 0x0
	.size	__hip_cuid_5c6d1cb363ddea15, 1

	.ident	"AMD clang version 22.0.0git (https://github.com/RadeonOpenCompute/llvm-project roc-7.2.4 26084 f58b06dce1f9c15707c5f808fd002e18c2accf7e)"
	.section	".note.GNU-stack","",@progbits
	.addrsig
	.addrsig_sym __hip_cuid_5c6d1cb363ddea15
	.amdgpu_metadata
---
amdhsa.kernels:
  - .args:
      - .offset:         0
        .size:           4
        .value_kind:     by_value
      - .offset:         4
        .size:           4
        .value_kind:     by_value
      - .offset:         8
        .size:           4
        .value_kind:     by_value
      - .actual_access:  read_only
        .address_space:  global
        .offset:         16
        .size:           8
        .value_kind:     global_buffer
      - .actual_access:  read_only
        .address_space:  global
        .offset:         24
        .size:           8
        .value_kind:     global_buffer
      - .offset:         32
        .size:           4
        .value_kind:     by_value
      - .offset:         36
        .size:           4
        .value_kind:     by_value
      - .offset:         40
        .size:           4
        .value_kind:     by_value
      - .offset:         44
        .size:           4
        .value_kind:     by_value
      - .address_space:  global
        .offset:         48
        .size:           8
        .value_kind:     global_buffer
    .group_segment_fixed_size: 0
    .kernarg_segment_align: 8
    .kernarg_segment_size: 56
    .language:       OpenCL C
    .language_version:
      - 2
      - 0
    .max_flat_workgroup_size: 256
    .name:           _ZN9rocsparseL23check_matrix_ell_deviceILj256EfiEEvT1_S1_S1_PKT0_PKS1_21rocsparse_index_base_22rocsparse_matrix_type_20rocsparse_fill_mode_23rocsparse_storage_mode_P22rocsparse_data_status_
    .private_segment_fixed_size: 0
    .sgpr_count:     36
    .sgpr_spill_count: 0
    .symbol:         _ZN9rocsparseL23check_matrix_ell_deviceILj256EfiEEvT1_S1_S1_PKT0_PKS1_21rocsparse_index_base_22rocsparse_matrix_type_20rocsparse_fill_mode_23rocsparse_storage_mode_P22rocsparse_data_status_.kd
    .uniform_work_group_size: 1
    .uses_dynamic_stack: false
    .vgpr_count:     8
    .vgpr_spill_count: 0
    .wavefront_size: 32
  - .args:
      - .offset:         0
        .size:           4
        .value_kind:     by_value
      - .offset:         4
        .size:           4
        .value_kind:     by_value
      - .offset:         8
        .size:           4
        .value_kind:     by_value
      - .actual_access:  read_only
        .address_space:  global
        .offset:         16
        .size:           8
        .value_kind:     global_buffer
      - .actual_access:  read_only
        .address_space:  global
        .offset:         24
        .size:           8
        .value_kind:     global_buffer
      - .offset:         32
        .size:           4
        .value_kind:     by_value
      - .offset:         36
        .size:           4
        .value_kind:     by_value
      - .offset:         40
        .size:           4
        .value_kind:     by_value
      - .offset:         44
        .size:           4
        .value_kind:     by_value
      - .address_space:  global
        .offset:         48
        .size:           8
        .value_kind:     global_buffer
    .group_segment_fixed_size: 0
    .kernarg_segment_align: 8
    .kernarg_segment_size: 56
    .language:       OpenCL C
    .language_version:
      - 2
      - 0
    .max_flat_workgroup_size: 256
    .name:           _ZN9rocsparseL23check_matrix_ell_deviceILj256EdiEEvT1_S1_S1_PKT0_PKS1_21rocsparse_index_base_22rocsparse_matrix_type_20rocsparse_fill_mode_23rocsparse_storage_mode_P22rocsparse_data_status_
    .private_segment_fixed_size: 0
    .sgpr_count:     33
    .sgpr_spill_count: 0
    .symbol:         _ZN9rocsparseL23check_matrix_ell_deviceILj256EdiEEvT1_S1_S1_PKT0_PKS1_21rocsparse_index_base_22rocsparse_matrix_type_20rocsparse_fill_mode_23rocsparse_storage_mode_P22rocsparse_data_status_.kd
    .uniform_work_group_size: 1
    .uses_dynamic_stack: false
    .vgpr_count:     10
    .vgpr_spill_count: 0
    .wavefront_size: 32
  - .args:
      - .offset:         0
        .size:           4
        .value_kind:     by_value
      - .offset:         4
        .size:           4
        .value_kind:     by_value
      - .offset:         8
        .size:           4
        .value_kind:     by_value
      - .actual_access:  read_only
        .address_space:  global
        .offset:         16
        .size:           8
        .value_kind:     global_buffer
      - .actual_access:  read_only
        .address_space:  global
        .offset:         24
        .size:           8
        .value_kind:     global_buffer
      - .offset:         32
        .size:           4
        .value_kind:     by_value
      - .offset:         36
        .size:           4
        .value_kind:     by_value
      - .offset:         40
        .size:           4
        .value_kind:     by_value
      - .offset:         44
        .size:           4
        .value_kind:     by_value
      - .address_space:  global
        .offset:         48
        .size:           8
        .value_kind:     global_buffer
    .group_segment_fixed_size: 0
    .kernarg_segment_align: 8
    .kernarg_segment_size: 56
    .language:       OpenCL C
    .language_version:
      - 2
      - 0
    .max_flat_workgroup_size: 256
    .name:           _ZN9rocsparseL23check_matrix_ell_deviceILj256E21rocsparse_complex_numIfEiEEvT1_S3_S3_PKT0_PKS3_21rocsparse_index_base_22rocsparse_matrix_type_20rocsparse_fill_mode_23rocsparse_storage_mode_P22rocsparse_data_status_
    .private_segment_fixed_size: 0
    .sgpr_count:     33
    .sgpr_spill_count: 0
    .symbol:         _ZN9rocsparseL23check_matrix_ell_deviceILj256E21rocsparse_complex_numIfEiEEvT1_S3_S3_PKT0_PKS3_21rocsparse_index_base_22rocsparse_matrix_type_20rocsparse_fill_mode_23rocsparse_storage_mode_P22rocsparse_data_status_.kd
    .uniform_work_group_size: 1
    .uses_dynamic_stack: false
    .vgpr_count:     10
    .vgpr_spill_count: 0
    .wavefront_size: 32
  - .args:
      - .offset:         0
        .size:           4
        .value_kind:     by_value
      - .offset:         4
        .size:           4
        .value_kind:     by_value
      - .offset:         8
        .size:           4
        .value_kind:     by_value
      - .actual_access:  read_only
        .address_space:  global
        .offset:         16
        .size:           8
        .value_kind:     global_buffer
      - .actual_access:  read_only
        .address_space:  global
        .offset:         24
        .size:           8
        .value_kind:     global_buffer
      - .offset:         32
        .size:           4
        .value_kind:     by_value
      - .offset:         36
        .size:           4
        .value_kind:     by_value
      - .offset:         40
        .size:           4
        .value_kind:     by_value
      - .offset:         44
        .size:           4
        .value_kind:     by_value
      - .address_space:  global
        .offset:         48
        .size:           8
        .value_kind:     global_buffer
    .group_segment_fixed_size: 0
    .kernarg_segment_align: 8
    .kernarg_segment_size: 56
    .language:       OpenCL C
    .language_version:
      - 2
      - 0
    .max_flat_workgroup_size: 256
    .name:           _ZN9rocsparseL23check_matrix_ell_deviceILj256E21rocsparse_complex_numIdEiEEvT1_S3_S3_PKT0_PKS3_21rocsparse_index_base_22rocsparse_matrix_type_20rocsparse_fill_mode_23rocsparse_storage_mode_P22rocsparse_data_status_
    .private_segment_fixed_size: 0
    .sgpr_count:     33
    .sgpr_spill_count: 0
    .symbol:         _ZN9rocsparseL23check_matrix_ell_deviceILj256E21rocsparse_complex_numIdEiEEvT1_S3_S3_PKT0_PKS3_21rocsparse_index_base_22rocsparse_matrix_type_20rocsparse_fill_mode_23rocsparse_storage_mode_P22rocsparse_data_status_.kd
    .uniform_work_group_size: 1
    .uses_dynamic_stack: false
    .vgpr_count:     12
    .vgpr_spill_count: 0
    .wavefront_size: 32
  - .args:
      - .offset:         0
        .size:           8
        .value_kind:     by_value
      - .offset:         8
        .size:           8
        .value_kind:     by_value
      - .offset:         16
        .size:           8
        .value_kind:     by_value
      - .actual_access:  read_only
        .address_space:  global
        .offset:         24
        .size:           8
        .value_kind:     global_buffer
      - .actual_access:  read_only
        .address_space:  global
        .offset:         32
        .size:           8
        .value_kind:     global_buffer
      - .offset:         40
        .size:           4
        .value_kind:     by_value
      - .offset:         44
        .size:           4
        .value_kind:     by_value
      - .offset:         48
        .size:           4
        .value_kind:     by_value
      - .offset:         52
        .size:           4
        .value_kind:     by_value
      - .address_space:  global
        .offset:         56
        .size:           8
        .value_kind:     global_buffer
    .group_segment_fixed_size: 0
    .kernarg_segment_align: 8
    .kernarg_segment_size: 64
    .language:       OpenCL C
    .language_version:
      - 2
      - 0
    .max_flat_workgroup_size: 256
    .name:           _ZN9rocsparseL23check_matrix_ell_deviceILj256EflEEvT1_S1_S1_PKT0_PKS1_21rocsparse_index_base_22rocsparse_matrix_type_20rocsparse_fill_mode_23rocsparse_storage_mode_P22rocsparse_data_status_
    .private_segment_fixed_size: 0
    .sgpr_count:     34
    .sgpr_spill_count: 0
    .symbol:         _ZN9rocsparseL23check_matrix_ell_deviceILj256EflEEvT1_S1_S1_PKT0_PKS1_21rocsparse_index_base_22rocsparse_matrix_type_20rocsparse_fill_mode_23rocsparse_storage_mode_P22rocsparse_data_status_.kd
    .uniform_work_group_size: 1
    .uses_dynamic_stack: false
    .vgpr_count:     10
    .vgpr_spill_count: 0
    .wavefront_size: 32
  - .args:
      - .offset:         0
        .size:           8
        .value_kind:     by_value
      - .offset:         8
        .size:           8
        .value_kind:     by_value
      - .offset:         16
        .size:           8
        .value_kind:     by_value
      - .actual_access:  read_only
        .address_space:  global
        .offset:         24
        .size:           8
        .value_kind:     global_buffer
      - .actual_access:  read_only
        .address_space:  global
        .offset:         32
        .size:           8
        .value_kind:     global_buffer
      - .offset:         40
        .size:           4
        .value_kind:     by_value
      - .offset:         44
        .size:           4
        .value_kind:     by_value
      - .offset:         48
        .size:           4
        .value_kind:     by_value
      - .offset:         52
        .size:           4
        .value_kind:     by_value
      - .address_space:  global
        .offset:         56
        .size:           8
        .value_kind:     global_buffer
    .group_segment_fixed_size: 0
    .kernarg_segment_align: 8
    .kernarg_segment_size: 64
    .language:       OpenCL C
    .language_version:
      - 2
      - 0
    .max_flat_workgroup_size: 256
    .name:           _ZN9rocsparseL23check_matrix_ell_deviceILj256EdlEEvT1_S1_S1_PKT0_PKS1_21rocsparse_index_base_22rocsparse_matrix_type_20rocsparse_fill_mode_23rocsparse_storage_mode_P22rocsparse_data_status_
    .private_segment_fixed_size: 0
    .sgpr_count:     32
    .sgpr_spill_count: 0
    .symbol:         _ZN9rocsparseL23check_matrix_ell_deviceILj256EdlEEvT1_S1_S1_PKT0_PKS1_21rocsparse_index_base_22rocsparse_matrix_type_20rocsparse_fill_mode_23rocsparse_storage_mode_P22rocsparse_data_status_.kd
    .uniform_work_group_size: 1
    .uses_dynamic_stack: false
    .vgpr_count:     11
    .vgpr_spill_count: 0
    .wavefront_size: 32
  - .args:
      - .offset:         0
        .size:           8
        .value_kind:     by_value
      - .offset:         8
        .size:           8
        .value_kind:     by_value
      - .offset:         16
        .size:           8
        .value_kind:     by_value
      - .actual_access:  read_only
        .address_space:  global
        .offset:         24
        .size:           8
        .value_kind:     global_buffer
      - .actual_access:  read_only
        .address_space:  global
        .offset:         32
        .size:           8
        .value_kind:     global_buffer
      - .offset:         40
        .size:           4
        .value_kind:     by_value
      - .offset:         44
        .size:           4
        .value_kind:     by_value
      - .offset:         48
        .size:           4
        .value_kind:     by_value
      - .offset:         52
        .size:           4
        .value_kind:     by_value
      - .address_space:  global
        .offset:         56
        .size:           8
        .value_kind:     global_buffer
    .group_segment_fixed_size: 0
    .kernarg_segment_align: 8
    .kernarg_segment_size: 64
    .language:       OpenCL C
    .language_version:
      - 2
      - 0
    .max_flat_workgroup_size: 256
    .name:           _ZN9rocsparseL23check_matrix_ell_deviceILj256E21rocsparse_complex_numIfElEEvT1_S3_S3_PKT0_PKS3_21rocsparse_index_base_22rocsparse_matrix_type_20rocsparse_fill_mode_23rocsparse_storage_mode_P22rocsparse_data_status_
    .private_segment_fixed_size: 0
    .sgpr_count:     39
    .sgpr_spill_count: 0
    .symbol:         _ZN9rocsparseL23check_matrix_ell_deviceILj256E21rocsparse_complex_numIfElEEvT1_S3_S3_PKT0_PKS3_21rocsparse_index_base_22rocsparse_matrix_type_20rocsparse_fill_mode_23rocsparse_storage_mode_P22rocsparse_data_status_.kd
    .uniform_work_group_size: 1
    .uses_dynamic_stack: false
    .vgpr_count:     7
    .vgpr_spill_count: 0
    .wavefront_size: 32
  - .args:
      - .offset:         0
        .size:           8
        .value_kind:     by_value
      - .offset:         8
        .size:           8
        .value_kind:     by_value
      - .offset:         16
        .size:           8
        .value_kind:     by_value
      - .actual_access:  read_only
        .address_space:  global
        .offset:         24
        .size:           8
        .value_kind:     global_buffer
      - .actual_access:  read_only
        .address_space:  global
        .offset:         32
        .size:           8
        .value_kind:     global_buffer
      - .offset:         40
        .size:           4
        .value_kind:     by_value
      - .offset:         44
        .size:           4
        .value_kind:     by_value
      - .offset:         48
        .size:           4
        .value_kind:     by_value
      - .offset:         52
        .size:           4
        .value_kind:     by_value
      - .address_space:  global
        .offset:         56
        .size:           8
        .value_kind:     global_buffer
    .group_segment_fixed_size: 0
    .kernarg_segment_align: 8
    .kernarg_segment_size: 64
    .language:       OpenCL C
    .language_version:
      - 2
      - 0
    .max_flat_workgroup_size: 256
    .name:           _ZN9rocsparseL23check_matrix_ell_deviceILj256E21rocsparse_complex_numIdElEEvT1_S3_S3_PKT0_PKS3_21rocsparse_index_base_22rocsparse_matrix_type_20rocsparse_fill_mode_23rocsparse_storage_mode_P22rocsparse_data_status_
    .private_segment_fixed_size: 0
    .sgpr_count:     34
    .sgpr_spill_count: 0
    .symbol:         _ZN9rocsparseL23check_matrix_ell_deviceILj256E21rocsparse_complex_numIdElEEvT1_S3_S3_PKT0_PKS3_21rocsparse_index_base_22rocsparse_matrix_type_20rocsparse_fill_mode_23rocsparse_storage_mode_P22rocsparse_data_status_.kd
    .uniform_work_group_size: 1
    .uses_dynamic_stack: false
    .vgpr_count:     13
    .vgpr_spill_count: 0
    .wavefront_size: 32
amdhsa.target:   amdgcn-amd-amdhsa--gfx1250
amdhsa.version:
  - 1
  - 2
...

	.end_amdgpu_metadata
